;; amdgpu-corpus repo=ggml-org/llama.cpp kind=compiled arch=gfx906 opt=O3
	.amdgcn_target "amdgcn-amd-amdhsa--gfx906"
	.amdhsa_code_object_version 6
	.section	.text._ZL18flash_attn_ext_vecILi64ELi1EL9ggml_type2ELS0_8ELb0EEvPKcS2_S2_S2_S2_PKiPfP15HIP_vector_typeIfLj2EEffffjfiS6_IjLj3EEiiiiiiiiiiiliiliiiiil,"axG",@progbits,_ZL18flash_attn_ext_vecILi64ELi1EL9ggml_type2ELS0_8ELb0EEvPKcS2_S2_S2_S2_PKiPfP15HIP_vector_typeIfLj2EEffffjfiS6_IjLj3EEiiiiiiiiiiiliiliiiiil,comdat
	.globl	_ZL18flash_attn_ext_vecILi64ELi1EL9ggml_type2ELS0_8ELb0EEvPKcS2_S2_S2_S2_PKiPfP15HIP_vector_typeIfLj2EEffffjfiS6_IjLj3EEiiiiiiiiiiiliiliiiiil ; -- Begin function _ZL18flash_attn_ext_vecILi64ELi1EL9ggml_type2ELS0_8ELb0EEvPKcS2_S2_S2_S2_PKiPfP15HIP_vector_typeIfLj2EEffffjfiS6_IjLj3EEiiiiiiiiiiiliiliiiiil
	.p2align	8
	.type	_ZL18flash_attn_ext_vecILi64ELi1EL9ggml_type2ELS0_8ELb0EEvPKcS2_S2_S2_S2_PKiPfP15HIP_vector_typeIfLj2EEffffjfiS6_IjLj3EEiiiiiiiiiiiliiliiiiil,@function
_ZL18flash_attn_ext_vecILi64ELi1EL9ggml_type2ELS0_8ELb0EEvPKcS2_S2_S2_S2_PKiPfP15HIP_vector_typeIfLj2EEffffjfiS6_IjLj3EEiiiiiiiiiiiliiliiiiil: ; @_ZL18flash_attn_ext_vecILi64ELi1EL9ggml_type2ELS0_8ELb0EEvPKcS2_S2_S2_S2_PKiPfP15HIP_vector_typeIfLj2EEffffjfiS6_IjLj3EEiiiiiiiiiiiliiliiiiil
; %bb.0:
	s_load_dwordx2 s[34:35], s[4:5], 0x64
	s_load_dwordx2 s[42:43], s[4:5], 0x80
	;; [unrolled: 1-line block ×3, first 2 shown]
	v_mov_b32_e32 v12, 1.0
	s_waitcnt lgkmcnt(0)
	v_cvt_f32_u32_e32 v2, s35
	s_sub_i32 s0, 0, s35
	v_rcp_iflag_f32_e32 v2, v2
	v_mul_f32_e32 v2, 0x4f7ffffe, v2
	v_cvt_u32_f32_e32 v2, v2
	v_readfirstlane_b32 s1, v2
	s_mul_i32 s0, s0, s1
	s_mul_hi_u32 s0, s1, s0
	s_add_i32 s1, s1, s0
	s_mul_hi_u32 s0, s8, s1
	s_mul_i32 s1, s0, s35
	s_sub_i32 s1, s8, s1
	s_add_i32 s2, s0, 1
	s_sub_i32 s3, s1, s35
	s_cmp_ge_u32 s1, s35
	s_cselect_b32 s0, s2, s0
	s_cselect_b32 s1, s3, s1
	s_add_i32 s2, s0, 1
	s_cmp_ge_u32 s1, s35
	s_cselect_b32 s33, s2, s0
	s_abs_i32 s0, s43
	v_cvt_f32_u32_e32 v2, s0
	s_mul_i32 s3, s33, s35
	s_sub_i32 s9, 0, s0
	s_sub_i32 s40, s8, s3
	v_rcp_iflag_f32_e32 v2, v2
	s_abs_i32 s2, s35
	s_xor_b32 s1, s35, s43
	s_ashr_i32 s1, s1, 31
	v_mul_f32_e32 v2, 0x4f7ffffe, v2
	v_cvt_u32_f32_e32 v2, v2
	v_readfirstlane_b32 s3, v2
	s_mul_i32 s9, s9, s3
	s_mul_hi_u32 s8, s3, s9
	s_add_i32 s3, s3, s8
	s_mul_hi_u32 s3, s2, s3
	s_mul_i32 s8, s3, s0
	s_sub_i32 s2, s2, s8
	s_add_i32 s9, s3, 1
	s_sub_i32 s8, s2, s0
	s_cmp_ge_u32 s2, s0
	s_cselect_b32 s3, s9, s3
	s_cselect_b32 s2, s8, s2
	s_add_i32 s8, s3, 1
	s_cmp_ge_u32 s2, s0
	s_cselect_b32 s0, s8, s3
	s_xor_b32 s0, s0, s1
	s_sub_i32 s36, s0, s1
	s_abs_i32 s48, s36
	s_abs_i32 s12, s12
	v_cvt_f32_u32_e32 v3, s48
	v_cvt_f32_u32_e32 v2, s12
	s_load_dwordx4 s[8:11], s[4:5], 0x40
	s_load_dword s0, s[4:5], 0x50
	s_sub_i32 s2, 0, s48
	v_rcp_iflag_f32_e32 v3, v3
	v_rcp_iflag_f32_e32 v2, v2
	s_sub_i32 s1, 0, s12
	s_abs_i32 s49, s40
	v_mul_f32_e32 v3, 0x4f7ffffe, v3
	v_mul_f32_e32 v2, 0x4f7ffffe, v2
	v_cvt_u32_f32_e32 v3, v3
	v_cvt_u32_f32_e32 v2, v2
	s_abs_i32 s43, s33
	v_readfirstlane_b32 s14, v3
	v_readfirstlane_b32 s15, v2
	s_mul_i32 s2, s2, s14
	s_mul_hi_u32 s2, s14, s2
	s_mul_i32 s1, s1, s15
	s_add_i32 s14, s14, s2
	s_mul_hi_u32 s1, s15, s1
	s_waitcnt lgkmcnt(0)
	v_cmp_le_f32_e64 s[2:3], s9, 0
	s_add_i32 s15, s15, s1
	s_and_b64 vcc, exec, s[2:3]
	s_cbranch_vccnz .LBB0_2
; %bb.1:
	v_mov_b32_e32 v2, s0
	v_sub_co_u32_e32 v2, vcc, s40, v2
	v_mov_b32_e32 v3, s11
	v_mov_b32_e32 v4, s10
	s_add_i32 s0, s40, 1
	v_lshlrev_b32_e32 v2, 1, v2
	v_cndmask_b32_e32 v3, v3, v4, vcc
	v_or_b32_e32 v2, 1, v2
	v_mov_b32_e32 v4, s0
	v_cndmask_b32_e32 v2, v2, v4, vcc
	v_cvt_f32_i32_e32 v2, v2
	v_cmp_neq_f32_e32 vcc, 1.0, v3
	s_mov_b32 s0, 0x3f2aaaab
	s_movk_i32 s2, 0x204
	v_cndmask_b32_e32 v4, 1.0, v2, vcc
	v_cmp_neq_f32_e32 vcc, 0, v4
	v_cndmask_b32_e32 v5, 1.0, v3, vcc
	v_frexp_mant_f32_e64 v2, |v5|
	v_cmp_gt_f32_e32 vcc, s0, v2
	v_cndmask_b32_e64 v3, 1.0, 2.0, vcc
	v_mul_f32_e32 v2, v2, v3
	v_add_f32_e32 v3, 1.0, v2
	v_rcp_f32_e32 v6, v3
	v_add_f32_e32 v7, -1.0, v2
	v_add_f32_e32 v8, -1.0, v3
	v_sub_f32_e32 v2, v2, v8
	v_mul_f32_e32 v8, v7, v6
	v_mul_f32_e32 v9, v3, v8
	v_fma_f32 v3, v8, v3, -v9
	v_fmac_f32_e32 v3, v8, v2
	v_add_f32_e32 v2, v9, v3
	v_sub_f32_e32 v10, v7, v2
	v_sub_f32_e32 v9, v2, v9
	;; [unrolled: 1-line block ×5, first 2 shown]
	v_add_f32_e32 v2, v3, v2
	v_add_f32_e32 v2, v10, v2
	v_mul_f32_e32 v2, v6, v2
	v_add_f32_e32 v6, v8, v2
	v_sub_f32_e32 v3, v6, v8
	v_sub_f32_e32 v7, v2, v3
	v_mul_f32_e32 v2, v6, v6
	v_fma_f32 v3, v6, v6, -v2
	v_add_f32_e32 v8, v7, v7
	v_fmac_f32_e32 v3, v6, v8
	v_add_f32_e32 v8, v2, v3
	v_mov_b32_e32 v9, 0x3e91f4c4
	v_sub_f32_e32 v2, v8, v2
	v_fmac_f32_e32 v9, 0x3e76c4e1, v8
	v_mov_b32_e32 v10, 0x3ecccdef
	v_sub_f32_e32 v2, v3, v2
	v_mul_f32_e32 v3, v6, v8
	v_fmac_f32_e32 v10, v8, v9
	v_fma_f32 v9, v8, v6, -v3
	v_fmac_f32_e32 v9, v8, v7
	v_fmac_f32_e32 v9, v2, v6
	v_add_f32_e32 v11, v3, v9
	v_sub_f32_e32 v3, v11, v3
	v_sub_f32_e32 v9, v9, v3
	v_mul_f32_e32 v3, v8, v10
	v_fma_f32 v8, v8, v10, -v3
	v_fmac_f32_e32 v8, v2, v10
	v_add_f32_e32 v10, v3, v8
	v_sub_f32_e32 v2, v10, v3
	v_sub_f32_e32 v8, v8, v2
	v_cvt_f64_f32_e64 v[2:3], |v5|
	v_add_f32_e32 v12, 0x3f2aaaaa, v10
	v_add_f32_e32 v13, 0xbf2aaaaa, v12
	;; [unrolled: 1-line block ×3, first 2 shown]
	v_frexp_exp_i32_f64_e32 v2, v[2:3]
	v_sub_f32_e32 v10, v10, v13
	v_add_f32_e32 v3, v8, v10
	v_add_f32_e32 v8, v12, v3
	v_sub_f32_e32 v10, v12, v8
	v_add_f32_e32 v3, v3, v10
	v_mul_f32_e32 v10, v11, v8
	v_fma_f32 v12, v11, v8, -v10
	v_subbrev_co_u32_e32 v2, vcc, 0, v2, vcc
	v_cvt_f32_i32_e32 v2, v2
	v_fmac_f32_e32 v12, v11, v3
	s_mov_b32 s0, 0x3f317218
	v_fmac_f32_e32 v12, v9, v8
	v_mul_f32_e32 v3, 0x3f317218, v2
	v_fma_f32 v8, v2, s0, -v3
	v_fmac_f32_e32 v8, 0xb102e308, v2
	v_ldexp_f32 v2, v7, 1
	v_add_f32_e32 v7, v3, v8
	v_sub_f32_e32 v3, v7, v3
	v_ldexp_f32 v6, v6, 1
	v_sub_f32_e32 v3, v8, v3
	v_add_f32_e32 v8, v10, v12
	v_sub_f32_e32 v9, v8, v10
	v_add_f32_e32 v10, v6, v8
	v_sub_f32_e32 v9, v12, v9
	v_sub_f32_e32 v6, v10, v6
	;; [unrolled: 1-line block ×3, first 2 shown]
	v_add_f32_e32 v2, v2, v9
	v_add_f32_e32 v2, v2, v6
	;; [unrolled: 1-line block ×3, first 2 shown]
	v_sub_f32_e32 v8, v6, v10
	v_sub_f32_e32 v2, v2, v8
	v_add_f32_e32 v8, v7, v6
	v_sub_f32_e32 v9, v8, v7
	v_sub_f32_e32 v10, v8, v9
	;; [unrolled: 1-line block ×4, first 2 shown]
	v_add_f32_e32 v6, v6, v7
	v_add_f32_e32 v7, v3, v2
	v_sub_f32_e32 v9, v7, v3
	v_sub_f32_e32 v10, v7, v9
	;; [unrolled: 1-line block ×4, first 2 shown]
	v_add_f32_e32 v2, v2, v3
	v_add_f32_e32 v3, v7, v6
	;; [unrolled: 1-line block ×3, first 2 shown]
	v_sub_f32_e32 v7, v6, v8
	v_sub_f32_e32 v3, v3, v7
	v_add_f32_e32 v2, v2, v3
	v_add_f32_e32 v3, v6, v2
	v_sub_f32_e32 v6, v3, v6
	v_sub_f32_e32 v2, v2, v6
	v_mul_f32_e32 v6, v4, v3
	v_fma_f32 v3, v4, v3, -v6
	v_fmac_f32_e32 v3, v4, v2
	v_add_f32_e32 v2, v6, v3
	v_cmp_class_f32_e64 vcc, v6, s2
	v_sub_f32_e32 v7, v2, v6
	v_cndmask_b32_e32 v2, v2, v6, vcc
	s_mov_b32 s1, 0x42b17218
	v_mov_b32_e32 v6, 0x37000000
	v_cmp_eq_f32_e32 vcc, s1, v2
	v_cndmask_b32_e32 v6, 0, v6, vcc
	v_sub_f32_e32 v3, v3, v7
	v_sub_f32_e32 v7, v2, v6
	s_mov_b32 s3, 0x3fb8aa3b
	v_mul_f32_e32 v8, 0x3fb8aa3b, v7
	v_fma_f32 v9, v7, s3, -v8
	v_rndne_f32_e32 v10, v8
	v_fmac_f32_e32 v9, 0x32a5705f, v7
	v_sub_f32_e32 v8, v8, v10
	v_add_f32_e32 v8, v8, v9
	v_exp_f32_e32 v8, v8
	v_cvt_i32_f32_e32 v9, v10
	s_mov_b32 s0, 0x7f800000
	v_cmp_neq_f32_e64 vcc, |v2|, s0
	s_mov_b32 s0, 0xc2ce8ed0
	v_cndmask_b32_e32 v2, 0, v3, vcc
	v_ldexp_f32 v3, v8, v9
	v_cmp_ngt_f32_e32 vcc, s0, v7
	v_add_f32_e32 v2, v6, v2
	v_cndmask_b32_e32 v3, 0, v3, vcc
	v_mov_b32_e32 v6, 0x7f800000
	v_cmp_nlt_f32_e32 vcc, s1, v7
	v_cndmask_b32_e32 v3, v6, v3, vcc
	v_fma_f32 v2, v3, v2, v3
	v_cmp_class_f32_e64 vcc, v3, s2
	v_cndmask_b32_e32 v2, v2, v3, vcc
	v_trunc_f32_e32 v3, v4
	v_cmp_eq_f32_e32 vcc, v3, v4
	v_mul_f32_e32 v3, 0.5, v4
	v_trunc_f32_e32 v8, v3
	v_cmp_neq_f32_e64 s[0:1], v8, v3
	s_and_b64 s[0:1], vcc, s[0:1]
	v_cndmask_b32_e64 v3, 1.0, v5, s[0:1]
	s_brev_b32 s9, -2
	v_mov_b32_e32 v7, 0x7fc00000
	v_bfi_b32 v2, s9, v2, v3
	v_cndmask_b32_e32 v3, v7, v2, vcc
	v_cmp_gt_f32_e32 vcc, 0, v5
	v_cndmask_b32_e32 v2, v2, v3, vcc
	v_cmp_class_f32_e64 s[10:11], v5, s2
	v_cmp_eq_f32_e32 vcc, 0, v5
	v_cmp_gt_f32_e64 s[2:3], 0, v4
	s_xor_b64 s[2:3], s[2:3], vcc
	v_cndmask_b32_e64 v3, v6, 0, s[2:3]
	v_cndmask_b32_e64 v4, 0, v5, s[0:1]
	v_bfi_b32 v3, s9, v3, v4
	s_or_b64 vcc, vcc, s[10:11]
	v_cndmask_b32_e32 v2, v2, v3, vcc
	v_cmp_o_f32_e32 vcc, v5, v5
	v_cndmask_b32_e32 v12, v7, v2, vcc
.LBB0_2:
	s_load_dwordx16 s[16:31], s[4:5], 0x0
	s_mul_hi_u32 s52, s49, s14
	s_mul_hi_u32 s50, s43, s15
	v_cmp_eq_u32_e64 s[0:1], 0, v1
	s_and_saveexec_b64 s[14:15], s[0:1]
	s_cbranch_execz .LBB0_15
; %bb.3:
	s_load_dwordx4 s[44:47], s[4:5], 0x70
	v_lshlrev_b32_e32 v2, 4, v0
	v_cmp_gt_u32_e32 vcc, 16, v0
	v_mov_b32_e32 v4, 0
	v_mov_b32_e32 v6, 0
	s_waitcnt lgkmcnt(0)
	s_mul_i32 s2, s33, s46
	s_mul_i32 s9, s44, s6
	;; [unrolled: 1-line block ×3, first 2 shown]
	s_add_i32 s2, s2, s9
	s_add_i32 s2, s2, s3
	s_ashr_i32 s3, s2, 31
	s_add_u32 s2, s16, s2
	s_addc_u32 s3, s17, s3
	v_mov_b32_e32 v3, s3
	v_add_co_u32_e64 v2, s[2:3], s2, v2
	v_addc_co_u32_e64 v3, s[2:3], 0, v3, s[2:3]
	s_and_saveexec_b64 s[2:3], vcc
	s_cbranch_execz .LBB0_5
; %bb.4:
	global_load_dword v5, v[2:3], off
	s_waitcnt vmcnt(0)
	v_mul_f32_e32 v6, s8, v5
.LBB0_5:
	s_or_b64 exec, exec, s[2:3]
	s_and_saveexec_b64 s[2:3], vcc
	s_cbranch_execz .LBB0_7
; %bb.6:
	global_load_dword v4, v[2:3], off offset:4
	s_waitcnt vmcnt(0)
	v_mul_f32_e32 v4, s8, v4
.LBB0_7:
	s_or_b64 exec, exec, s[2:3]
	v_mov_b32_e32 v5, 0
	v_mov_b32_e32 v7, 0
	s_and_saveexec_b64 s[2:3], vcc
	s_cbranch_execz .LBB0_9
; %bb.8:
	global_load_dword v7, v[2:3], off offset:8
	s_waitcnt vmcnt(0)
	v_mul_f32_e32 v7, s8, v7
.LBB0_9:
	s_or_b64 exec, exec, s[2:3]
	s_and_saveexec_b64 s[2:3], vcc
	s_cbranch_execz .LBB0_11
; %bb.10:
	global_load_dword v2, v[2:3], off offset:12
	s_waitcnt vmcnt(0)
	v_mul_f32_e32 v5, s8, v2
.LBB0_11:
	s_or_b64 exec, exec, s[2:3]
	v_mbcnt_lo_u32_b32 v2, -1, 0
	v_mbcnt_hi_u32_b32 v2, -1, v2
	v_and_b32_e32 v3, 0x60, v2
	v_add_u32_e32 v3, 32, v3
	v_xor_b32_e32 v8, 4, v2
	v_cmp_lt_i32_e32 vcc, v8, v3
	v_max_f32_e64 v9, |v4|, |v4|
	v_max_f32_e64 v10, |v6|, |v6|
	v_cndmask_b32_e32 v8, v2, v8, vcc
	v_max_f32_e32 v9, v10, v9
	v_lshlrev_b32_e32 v8, 2, v8
	v_max3_f32 v9, v9, |v7|, |v5|
	ds_bpermute_b32 v10, v8, v9
	v_xor_b32_e32 v11, 2, v2
	v_cmp_lt_i32_e32 vcc, v11, v3
	v_cndmask_b32_e32 v11, v2, v11, vcc
	v_lshlrev_b32_e32 v11, 2, v11
	s_waitcnt lgkmcnt(0)
	v_max_f32_e32 v10, v10, v10
	v_max_f32_e32 v9, v9, v10
	ds_bpermute_b32 v10, v11, v9
	v_xor_b32_e32 v13, 1, v2
	v_cmp_lt_i32_e32 vcc, v13, v3
	v_cndmask_b32_e32 v2, v2, v13, vcc
	v_lshlrev_b32_e32 v2, 2, v2
	s_waitcnt lgkmcnt(0)
	v_max_f32_e32 v3, v10, v10
	v_max_f32_e32 v3, v9, v3
	ds_bpermute_b32 v9, v2, v3
	s_mov_b32 s8, 0x42fe0000
	v_add_f32_e32 v14, v6, v4
	v_add_f32_e32 v14, v14, v7
	;; [unrolled: 1-line block ×3, first 2 shown]
	s_waitcnt lgkmcnt(0)
	v_max_f32_e32 v9, v9, v9
	v_max_f32_e32 v10, v3, v9
	v_div_scale_f32 v3, s[2:3], s8, s8, v10
	v_div_scale_f32 v9, vcc, v10, s8, v10
	v_rcp_f32_e32 v13, v3
	v_fma_f32 v15, -v3, v13, 1.0
	v_fmac_f32_e32 v13, v15, v13
	v_mul_f32_e32 v15, v9, v13
	v_fma_f32 v16, -v3, v15, v9
	v_fmac_f32_e32 v15, v16, v13
	v_fma_f32 v3, -v3, v15, v9
	v_div_fmas_f32 v13, v3, v13, v15
	ds_bpermute_b32 v3, v8, v14
	v_mov_b32_e32 v9, 0
	s_waitcnt lgkmcnt(0)
	v_add_f32_e32 v3, v14, v3
	ds_bpermute_b32 v8, v11, v3
	s_waitcnt lgkmcnt(0)
	v_add_f32_e32 v3, v3, v8
	ds_bpermute_b32 v8, v2, v3
	v_div_fixup_f32 v2, v13, s8, v10
	v_cmp_neq_f32_e32 vcc, 0, v2
	s_and_saveexec_b64 s[16:17], vcc
	s_cbranch_execz .LBB0_13
; %bb.12:
	v_div_scale_f32 v9, s[2:3], v2, v2, v6
	v_div_scale_f32 v13, vcc, v6, v2, v6
	v_div_scale_f32 v10, s[2:3], v2, v2, v4
	v_div_scale_f32 v11, s[2:3], v2, v2, v7
	;; [unrolled: 1-line block ×5, first 2 shown]
	s_brev_b32 s37, -2
	v_rcp_f32_e32 v16, v9
	v_rcp_f32_e32 v18, v10
	v_fma_f32 v20, -v9, v16, 1.0
	v_fmac_f32_e32 v16, v20, v16
	v_mul_f32_e32 v20, v13, v16
	v_fma_f32 v21, -v9, v20, v13
	v_fmac_f32_e32 v20, v21, v16
	v_fma_f32 v9, -v9, v20, v13
	v_div_fmas_f32 v9, v9, v16, v20
	v_div_scale_f32 v13, s[10:11], v5, v2, v5
	v_fma_f32 v16, -v10, v18, 1.0
	v_fmac_f32_e32 v18, v16, v18
	v_mul_f32_e32 v16, v14, v18
	v_fma_f32 v21, -v10, v16, v14
	v_fmac_f32_e32 v16, v21, v18
	v_rcp_f32_e32 v19, v11
	v_fma_f32 v10, -v10, v16, v14
	s_mov_b64 vcc, s[2:3]
	v_div_fmas_f32 v10, v10, v18, v16
	v_fma_f32 v20, -v11, v19, 1.0
	v_fmac_f32_e32 v19, v20, v19
	v_mul_f32_e32 v20, v15, v19
	v_fma_f32 v22, -v11, v20, v15
	v_div_fixup_f32 v6, v9, v2, v6
	v_trunc_f32_e32 v9, v6
	v_sub_f32_e32 v14, v6, v9
	v_cmp_ge_f32_e64 s[2:3], |v14|, 0.5
	v_cndmask_b32_e64 v14, 0, 1.0, s[2:3]
	v_bfi_b32 v6, s37, v14, v6
	v_add_f32_e32 v6, v9, v6
	v_rcp_f32_e32 v9, v17
	v_fmac_f32_e32 v20, v22, v19
	v_fma_f32 v11, -v11, v20, v15
	s_mov_b64 vcc, s[8:9]
	v_fma_f32 v14, -v17, v9, 1.0
	v_fmac_f32_e32 v9, v14, v9
	v_div_fmas_f32 v11, v11, v19, v20
	v_mul_f32_e32 v14, v13, v9
	v_fma_f32 v15, -v17, v14, v13
	v_fmac_f32_e32 v14, v15, v9
	v_fma_f32 v13, -v17, v14, v13
	s_mov_b64 vcc, s[10:11]
	v_div_fmas_f32 v9, v13, v9, v14
	v_div_fixup_f32 v4, v10, v2, v4
	v_trunc_f32_e32 v10, v4
	v_sub_f32_e32 v13, v4, v10
	v_cmp_ge_f32_e64 s[2:3], |v13|, 0.5
	v_cndmask_b32_e64 v13, 0, 1.0, s[2:3]
	v_bfi_b32 v4, s37, v13, v4
	v_add_f32_e32 v4, v10, v4
	v_cvt_i32_f32_e32 v6, v6
	v_cvt_i32_f32_e32 v4, v4
	v_div_fixup_f32 v7, v11, v2, v7
	v_trunc_f32_e32 v10, v7
	v_sub_f32_e32 v11, v7, v10
	v_cmp_ge_f32_e64 s[2:3], |v11|, 0.5
	v_cndmask_b32_e64 v11, 0, 1.0, s[2:3]
	v_bfi_b32 v7, s37, v11, v7
	v_div_fixup_f32 v5, v9, v2, v5
	v_trunc_f32_e32 v9, v5
	v_add_f32_e32 v7, v10, v7
	v_sub_f32_e32 v10, v5, v9
	v_cmp_ge_f32_e64 s[2:3], |v10|, 0.5
	v_cndmask_b32_e64 v10, 0, 1.0, s[2:3]
	v_cvt_i32_f32_e32 v7, v7
	v_bfi_b32 v5, s37, v10, v5
	v_add_f32_e32 v5, v9, v5
	v_cvt_i32_f32_e32 v5, v5
	v_and_b32_e32 v7, 0xff, v7
	v_lshlrev_b32_e32 v7, 16, v7
	v_and_b32_e32 v6, 0xff, v6
	v_lshl_or_b32 v5, v5, 24, v7
	v_mov_b32_e32 v7, 8
	v_lshlrev_b32_sdwa v4, v7, v4 dst_sel:DWORD dst_unused:UNUSED_PAD src0_sel:DWORD src1_sel:BYTE_0
	v_or3_b32 v9, v5, v4, v6
.LBB0_13:
	s_or_b64 exec, exec, s[16:17]
	v_and_b32_e32 v5, 0x77, v0
	v_lshlrev_b32_e32 v4, 2, v0
	v_cmp_eq_u32_e32 vcc, 0, v5
	ds_write_b32 v4, v9
	s_and_b64 exec, exec, vcc
	s_cbranch_execz .LBB0_15
; %bb.14:
	s_waitcnt lgkmcnt(1)
	v_add_f32_e32 v3, v3, v8
	ds_write_b64 v0, v[2:3] offset:64
.LBB0_15:
	s_or_b64 exec, exec, s[14:15]
	v_and_b32_e32 v10, 3, v0
	v_lshlrev_b32_e32 v2, 2, v10
	v_mov_b32_e32 v47, 0
	s_waitcnt lgkmcnt(0)
	s_barrier
	ds_read2_b32 v[6:7], v2 offset1:4
	ds_read2_b32 v[8:9], v2 offset0:8 offset1:12
	ds_read_b128 v[2:5], v47 offset:64
	s_ashr_i32 s41, s40, 31
	s_ashr_i32 s2, s36, 31
	;; [unrolled: 1-line block ×3, first 2 shown]
	s_cmp_eq_u64 s[26:27], 0
	s_waitcnt lgkmcnt(0)
	s_barrier
	s_cbranch_scc1 .LBB0_17
; %bb.16:
	s_load_dword s3, s[4:5], 0xd0
	s_mov_b32 s9, 0
	s_waitcnt lgkmcnt(0)
	s_mul_i32 s3, s3, s33
	s_add_i32 s8, s3, s6
	s_lshl_b64 s[8:9], s[8:9], 2
	s_add_u32 s8, s26, s8
	s_addc_u32 s9, s27, s9
	s_load_dword s42, s[8:9], 0x0
.LBB0_17:
	v_lshlrev_b32_e32 v11, 5, v1
	v_add_u32_e32 v13, v11, v0
	s_lshl_b32 s16, s7, 7
	s_mov_b32 s17, 0
	s_waitcnt lgkmcnt(0)
	s_cmp_ge_i32 s16, s42
	v_lshlrev_b32_e32 v15, 2, v0
	v_mbcnt_lo_u32_b32 v16, -1, 0
	v_lshlrev_b32_e32 v14, 1, v13
	s_cbranch_scc1 .LBB0_29
; %bb.18:
	s_load_dwordx4 s[36:39], s[4:5], 0x98
	s_load_dwordx2 s[44:45], s[4:5], 0x8c
	s_load_dwordx2 s[46:47], s[4:5], 0xc8
	s_xor_b32 s2, s41, s2
	s_mul_i32 s50, s50, s12
	s_waitcnt lgkmcnt(0)
	s_mul_hi_u32 s3, s36, s33
	s_mul_i32 s8, s36, s51
	s_add_i32 s53, s3, s8
	s_mul_i32 s3, s52, s48
	s_mul_i32 s9, s37, s33
	s_sub_i32 s3, s49, s3
	s_add_i32 s53, s53, s9
	s_add_i32 s8, s52, 1
	s_sub_i32 s9, s3, s48
	s_cmp_ge_u32 s3, s48
	s_cselect_b32 s8, s8, s52
	s_cselect_b32 s3, s9, s3
	s_add_i32 s9, s8, 1
	s_cmp_ge_u32 s3, s48
	s_cselect_b32 s3, s9, s8
	s_xor_b32 s3, s3, s2
	s_sub_i32 s2, s3, s2
	s_mul_i32 s52, s2, s45
	s_mul_i32 s39, s2, s39
	s_sub_i32 s2, s43, s50
	s_ashr_i32 s55, s52, 31
	s_ashr_i32 s45, s39, 31
	s_sub_i32 s3, s2, s12
	v_mbcnt_hi_u32_b32 v18, -1, v16
	s_cmp_ge_u32 s2, s12
	v_and_b32_e32 v19, 0x7c, v18
	s_cselect_b32 s2, s3, s2
	v_add_u32_e32 v19, 4, v19
	v_xor_b32_e32 v20, 2, v18
	s_sub_i32 s3, s2, s12
	v_cmp_lt_i32_e32 vcc, v20, v19
	s_cmp_ge_u32 s2, s12
	v_cndmask_b32_e32 v96, v18, v20, vcc
	v_xor_b32_e32 v20, 1, v18
	s_cselect_b32 s2, s3, s2
	v_and_b32_e32 v17, 0x7c, v0
	v_cmp_lt_i32_e32 vcc, v20, v19
	v_and_b32_e32 v19, 0x60, v18
	s_xor_b32 s2, s2, s51
	v_add_u32_e32 v23, v11, v17
	v_add_u32_e32 v19, 32, v19
	v_xor_b32_e32 v22, 4, v18
	s_sub_i32 s12, s2, s51
	v_cndmask_b32_e32 v97, v18, v20, vcc
	v_mul_lo_u32 v31, v23, s44
	v_cmp_lt_i32_e32 vcc, v22, v19
	s_ashr_i32 s2, s12, 31
	v_cndmask_b32_e32 v98, v18, v22, vcc
	v_xor_b32_e32 v22, 8, v18
	s_load_dword s3, s[4:5], 0xd4
	s_load_dwordx2 s[48:49], s[4:5], 0xa8
	s_mul_i32 s2, s46, s2
	s_mul_hi_u32 s8, s46, s12
	v_cmp_lt_i32_e32 vcc, v22, v19
	s_add_i32 s2, s8, s2
	s_mul_i32 s8, s47, s12
	s_mul_i32 s43, s13, s6
	v_cndmask_b32_e32 v99, v18, v22, vcc
	v_xor_b32_e32 v22, 16, v18
	s_mul_i32 s54, s36, s33
	s_add_i32 s37, s2, s8
	s_ashr_i32 s47, s43, 31
	v_and_b32_e32 v17, 12, v15
	v_lshrrev_b32_e32 v20, 4, v0
	v_add_u32_e32 v27, s44, v31
	v_cmp_lt_i32_e32 vcc, v22, v19
	s_cmp_lg_u64 s[22:23], 0
	v_add_u32_e32 v24, s44, v27
	v_cndmask_b32_e32 v100, v18, v22, vcc
	v_or_b32_e32 v101, v11, v20
	v_add_u32_e32 v102, v11, v20
	v_mov_b32_e32 v11, s53
	v_add_co_u32_e32 v29, vcc, s54, v17
	s_cselect_b64 s[26:27], -1, 0
	s_waitcnt lgkmcnt(0)
	s_lshl_b32 s36, s3, 7
	v_cmp_eq_u32_e64 s[2:3], 3, v10
	v_cmp_eq_u32_e64 s[14:15], 0, v10
	;; [unrolled: 1-line block ×4, first 2 shown]
	v_add_u32_e32 v10, s44, v24
	v_addc_co_u32_e32 v30, vcc, 0, v11, vcc
	v_ashrrev_i32_e32 v21, 31, v10
	v_add_co_u32_e32 v11, vcc, v29, v10
	s_add_u32 s50, s18, s52
	v_addc_co_u32_e32 v18, vcc, v30, v21, vcc
	s_addc_u32 s56, s19, s55
	v_mov_b32_e32 v19, s56
	v_add_co_u32_e32 v17, vcc, s50, v11
	s_add_u32 s57, s50, s54
	v_addc_co_u32_e32 v18, vcc, v19, v18, vcc
	s_addc_u32 s58, s56, s53
	s_mul_i32 s46, s46, s12
	s_lshl_b64 s[12:13], s[16:17], 1
	v_mov_b32_e32 v11, s58
	v_add_co_u32_e32 v19, vcc, s57, v10
	s_add_u32 s12, s46, s12
	v_addc_co_u32_e32 v20, vcc, v11, v21, vcc
	s_addc_u32 s13, s37, s13
	v_ashrrev_i32_e32 v25, 31, v24
	v_add_co_u32_e32 v10, vcc, v29, v24
	s_add_u32 s22, s22, s43
	v_addc_co_u32_e32 v11, vcc, v30, v25, vcc
	s_addc_u32 s23, s23, s47
	v_mov_b32_e32 v22, s56
	v_add_co_u32_e32 v21, vcc, s50, v10
	s_add_u32 s12, s22, s12
	v_addc_co_u32_e32 v22, vcc, v22, v11, vcc
	v_lshlrev_b32_e32 v10, 1, v23
	s_addc_u32 s13, s23, s13
	v_mov_b32_e32 v11, s13
	v_add_co_u32_e32 v10, vcc, s12, v10
	v_addc_co_u32_e32 v11, vcc, 0, v11, vcc
	v_add_co_u32_e32 v10, vcc, 6, v10
	v_addc_co_u32_e32 v11, vcc, 0, v11, vcc
	v_mov_b32_e32 v26, s58
	v_add_co_u32_e32 v23, vcc, s57, v24
	v_addc_co_u32_e32 v24, vcc, v26, v25, vcc
	v_ashrrev_i32_e32 v28, 31, v27
	v_add_co_u32_e32 v25, vcc, v29, v27
	v_addc_co_u32_e32 v26, vcc, v30, v28, vcc
	v_mov_b32_e32 v32, s56
	v_add_co_u32_e32 v25, vcc, s50, v25
	v_addc_co_u32_e32 v26, vcc, v32, v26, vcc
	v_mov_b32_e32 v32, s58
	v_add_co_u32_e32 v27, vcc, s57, v27
	v_addc_co_u32_e32 v28, vcc, v32, v28, vcc
	v_mov_b32_e32 v32, s55
	v_add_co_u32_e32 v29, vcc, s52, v29
	s_mov_b32 s37, s17
	v_addc_co_u32_e32 v30, vcc, v30, v32, vcc
	s_lshl_b64 s[22:23], s[36:37], 1
	v_ashrrev_i32_e32 v32, 31, v31
	v_add_co_u32_e32 v29, vcc, v29, v31
	s_add_u32 s12, s54, s52
	v_addc_co_u32_e32 v30, vcc, v30, v32, vcc
	s_addc_u32 s13, s53, s55
	v_mov_b32_e32 v33, s19
	v_add_co_u32_e32 v29, vcc, s18, v29
	s_add_u32 s12, s18, s12
	v_addc_co_u32_e32 v30, vcc, v33, v30, vcc
	s_addc_u32 s13, s19, s13
	v_mov_b32_e32 v33, s13
	v_add_co_u32_e32 v103, vcc, s12, v31
	v_bfe_u32 v31, v0, 3, 1
	v_addc_co_u32_e32 v104, vcc, v33, v32, vcc
	v_mul_hi_u32_u24_e32 v32, 34, v31
	v_mul_u32_u24_e32 v31, 34, v31
	v_mov_b32_e32 v33, s33
	v_mad_u64_u32 v[47:48], s[12:13], s48, v33, v[31:32]
	v_add_u32_e32 v31, 30, v102
	s_mul_i32 s12, s49, s33
	s_mul_i32 s13, s48, s51
	v_mul_lo_u32 v33, s38, v31
	s_add_i32 s17, s13, s12
	v_and_b32_e32 v31, 28, v15
	v_add_u32_e32 v94, s17, v48
	v_add_co_u32_e32 v92, vcc, v47, v31
	v_addc_co_u32_e32 v93, vcc, 0, v94, vcc
	s_add_u32 s12, s20, s39
	v_ashrrev_i32_e32 v34, 31, v33
	v_add_co_u32_e32 v31, vcc, v92, v33
	s_addc_u32 s13, s21, s45
	v_addc_co_u32_e32 v32, vcc, v93, v34, vcc
	v_mov_b32_e32 v35, s13
	v_add_co_u32_e32 v31, vcc, s12, v31
	v_addc_co_u32_e32 v32, vcc, v35, v32, vcc
	v_add_u32_e32 v36, 28, v102
	v_add_co_u32_e32 v33, vcc, v47, v33
	v_mul_lo_u32 v37, s38, v36
	v_addc_co_u32_e32 v34, vcc, v94, v34, vcc
	v_add_co_u32_e32 v33, vcc, s12, v33
	v_addc_co_u32_e32 v34, vcc, v35, v34, vcc
	v_ashrrev_i32_e32 v38, 31, v37
	v_add_co_u32_e32 v35, vcc, v92, v37
	v_addc_co_u32_e32 v36, vcc, v93, v38, vcc
	v_mov_b32_e32 v39, s13
	v_add_co_u32_e32 v35, vcc, s12, v35
	v_addc_co_u32_e32 v36, vcc, v39, v36, vcc
	v_add_u32_e32 v40, 26, v102
	v_add_co_u32_e32 v37, vcc, v47, v37
	v_mul_lo_u32 v41, s38, v40
	v_addc_co_u32_e32 v38, vcc, v94, v38, vcc
	v_add_co_u32_e32 v37, vcc, s12, v37
	v_addc_co_u32_e32 v38, vcc, v39, v38, vcc
	v_ashrrev_i32_e32 v42, 31, v41
	v_add_co_u32_e32 v39, vcc, v92, v41
	;; [unrolled: 12-line block ×14, first 2 shown]
	v_addc_co_u32_e32 v89, vcc, v93, v91, vcc
	v_mov_b32_e32 v95, s13
	v_add_co_u32_e32 v88, vcc, s12, v88
	v_addc_co_u32_e32 v89, vcc, v95, v89, vcc
	v_add_co_u32_e32 v90, vcc, v47, v90
	v_addc_co_u32_e32 v91, vcc, v94, v91, vcc
	v_add_co_u32_e32 v90, vcc, s12, v90
	v_mul_lo_u32 v105, s38, v102
	v_addc_co_u32_e32 v91, vcc, v95, v91, vcc
	v_mov_b32_e32 v95, s45
	v_add_co_u32_e32 v92, vcc, s39, v92
	v_addc_co_u32_e32 v93, vcc, v93, v95, vcc
	v_ashrrev_i32_e32 v95, 31, v105
	v_add_co_u32_e32 v92, vcc, v92, v105
	v_addc_co_u32_e32 v93, vcc, v93, v95, vcc
	v_mov_b32_e32 v106, s21
	v_add_co_u32_e32 v92, vcc, s20, v92
	v_addc_co_u32_e32 v93, vcc, v106, v93, vcc
	v_mov_b32_e32 v106, s45
	v_add_co_u32_e32 v47, vcc, s39, v47
	v_addc_co_u32_e32 v94, vcc, v94, v106, vcc
	v_add_co_u32_e32 v47, vcc, v47, v105
	v_addc_co_u32_e32 v95, vcc, v94, v95, vcc
	v_mov_b32_e32 v105, s21
	v_add_co_u32_e32 v94, vcc, s20, v47
	v_addc_co_u32_e32 v95, vcc, v105, v95, vcc
	v_add_co_u32_e32 v103, vcc, 18, v103
	s_mul_i32 s17, s38, s16
	s_mul_i32 s18, s44, s16
	v_lshlrev_b32_e32 v96, 2, v96
	v_lshlrev_b32_e32 v97, 2, v97
	s_mul_i32 s19, s36, s44
	s_mul_i32 s20, s36, s38
	v_lshlrev_b32_e32 v98, 2, v98
	v_lshlrev_b32_e32 v99, 2, v99
	;; [unrolled: 1-line block ×5, first 2 shown]
	v_addc_co_u32_e32 v104, vcc, 0, v104, vcc
	s_mov_b32 s21, 0x3fb8aa3b
	s_mov_b32 s37, 0xc2ce8ed0
	;; [unrolled: 1-line block ×3, first 2 shown]
	v_mov_b32_e32 v47, 0
	v_mov_b32_e32 v110, 0xfeffffff
	;; [unrolled: 1-line block ×5, first 2 shown]
                                        ; implicit-def: $vgpr106
.LBB0_19:                               ; =>This Inner Loop Header: Depth=1
	v_add_co_u32_e32 v111, vcc, s18, v29
	v_addc_co_u32_e32 v112, vcc, 0, v30, vcc
	global_load_dword v107, v[111:112], off offset:2
	global_load_dword v113, v[111:112], off offset:20
	v_add_co_u32_e32 v111, vcc, s18, v103
	v_addc_co_u32_e32 v112, vcc, 0, v104, vcc
	global_load_ushort v114, v[111:112], off offset:-18
	global_load_ushort v115, v[111:112], off
	s_and_b64 vcc, exec, s[26:27]
	s_waitcnt vmcnt(3)
	v_and_b32_e32 v111, 0xf0f0f0f, v107
	v_lshrrev_b32_e32 v107, 4, v107
	v_dot4_i32_i8 v111, v111, v6, 0
	v_and_b32_e32 v107, 0xf0f0f0f, v107
	s_waitcnt vmcnt(2)
	v_and_b32_e32 v112, 0xf0f0f0f, v113
	v_lshrrev_b32_e32 v113, 4, v113
	v_dot4_i32_i8 v107, v107, v7, 0
	v_cvt_f32_i32_e32 v111, v111
	v_dot4_i32_i8 v112, v112, v8, 0
	v_and_b32_e32 v113, 0xf0f0f0f, v113
	v_cvt_f32_i32_e32 v107, v107
	v_dot4_i32_i8 v113, v113, v9, 0
	v_cvt_f32_i32_e32 v112, v112
	v_cvt_f32_i32_e32 v113, v113
	v_fma_f32 v111, v2, v111, -v3
	v_fma_f32 v107, v2, v107, -v3
	s_waitcnt vmcnt(1)
	v_fma_mix_f32 v111, v111, v114, 0 op_sel_hi:[0,1,0]
	v_fma_f32 v112, v4, v112, -v5
	v_fma_mix_f32 v107, v107, v114, v111 op_sel_hi:[0,1,0]
	v_fma_f32 v113, v4, v113, -v5
	s_waitcnt vmcnt(0)
	v_fma_mix_f32 v107, v112, v115, v107 op_sel_hi:[0,1,0]
	v_fma_mix_f32 v107, v113, v115, v107 op_sel_hi:[0,1,0]
	ds_bpermute_b32 v111, v96, v107
	s_waitcnt lgkmcnt(0)
	v_add_f32_e32 v107, v107, v111
	ds_bpermute_b32 v111, v97, v107
	s_waitcnt lgkmcnt(0)
	v_add_f32_e32 v107, v107, v111
	s_cbranch_vccz .LBB0_21
; %bb.20:                               ;   in Loop: Header=BB0_19 Depth=1
	global_load_ushort v111, v[10:11], off offset:-6
	s_waitcnt vmcnt(0)
	v_fma_mix_f32 v107, v12, v111, v107 op_sel_hi:[0,1,0]
.LBB0_21:                               ;   in Loop: Header=BB0_19 Depth=1
	v_add_co_u32_e32 v111, vcc, s18, v25
	v_addc_co_u32_e32 v112, vcc, 0, v26, vcc
	global_load_dword v113, v[111:112], off offset:2
	global_load_dword v114, v[111:112], off offset:20
	v_add_co_u32_e32 v111, vcc, s18, v27
	v_addc_co_u32_e32 v112, vcc, 0, v28, vcc
	global_load_ushort v115, v[111:112], off
	global_load_ushort v116, v[111:112], off offset:18
	s_andn2_b64 vcc, exec, s[26:27]
	s_waitcnt vmcnt(3)
	v_and_b32_e32 v111, 0xf0f0f0f, v113
	v_lshrrev_b32_e32 v112, 4, v113
	v_dot4_i32_i8 v111, v111, v6, 0
	v_and_b32_e32 v112, 0xf0f0f0f, v112
	s_waitcnt vmcnt(2)
	v_and_b32_e32 v113, 0xf0f0f0f, v114
	v_lshrrev_b32_e32 v114, 4, v114
	v_dot4_i32_i8 v112, v112, v7, 0
	v_cvt_f32_i32_e32 v111, v111
	v_dot4_i32_i8 v113, v113, v8, 0
	v_and_b32_e32 v114, 0xf0f0f0f, v114
	v_cvt_f32_i32_e32 v112, v112
	v_dot4_i32_i8 v114, v114, v9, 0
	v_cvt_f32_i32_e32 v113, v113
	v_cvt_f32_i32_e32 v114, v114
	v_fma_f32 v111, v2, v111, -v3
	v_fma_f32 v112, v2, v112, -v3
	s_waitcnt vmcnt(1)
	v_fma_mix_f32 v111, v111, v115, 0 op_sel_hi:[0,1,0]
	v_fma_mix_f32 v111, v112, v115, v111 op_sel_hi:[0,1,0]
	v_fma_f32 v112, v4, v113, -v5
	v_fma_f32 v114, v4, v114, -v5
	s_waitcnt vmcnt(0)
	v_fma_mix_f32 v111, v112, v116, v111 op_sel_hi:[0,1,0]
	v_fma_mix_f32 v111, v114, v116, v111 op_sel_hi:[0,1,0]
	ds_bpermute_b32 v112, v96, v111
	v_cndmask_b32_e64 v113, 0, 1, s[26:27]
	v_cmp_ne_u32_e64 s[12:13], 1, v113
	s_waitcnt lgkmcnt(0)
	v_add_f32_e32 v111, v111, v112
	ds_bpermute_b32 v112, v97, v111
	s_waitcnt lgkmcnt(0)
	v_add_f32_e32 v111, v111, v112
	s_cbranch_vccnz .LBB0_23
; %bb.22:                               ;   in Loop: Header=BB0_19 Depth=1
	global_load_ushort v112, v[10:11], off offset:-4
	s_waitcnt vmcnt(0)
	v_fma_mix_f32 v111, v12, v112, v111 op_sel_hi:[0,1,0]
.LBB0_23:                               ;   in Loop: Header=BB0_19 Depth=1
	v_add_co_u32_e32 v112, vcc, s18, v21
	v_addc_co_u32_e32 v113, vcc, 0, v22, vcc
	global_load_dword v114, v[112:113], off offset:2
	global_load_dword v115, v[112:113], off offset:20
	v_add_co_u32_e32 v112, vcc, s18, v23
	v_addc_co_u32_e32 v113, vcc, 0, v24, vcc
	global_load_ushort v116, v[112:113], off
	global_load_ushort v117, v[112:113], off offset:18
	s_and_b64 vcc, exec, s[12:13]
	s_waitcnt vmcnt(3)
	v_and_b32_e32 v112, 0xf0f0f0f, v114
	v_lshrrev_b32_e32 v113, 4, v114
	v_dot4_i32_i8 v112, v112, v6, 0
	v_and_b32_e32 v113, 0xf0f0f0f, v113
	s_waitcnt vmcnt(2)
	v_and_b32_e32 v114, 0xf0f0f0f, v115
	v_lshrrev_b32_e32 v115, 4, v115
	v_dot4_i32_i8 v113, v113, v7, 0
	v_cvt_f32_i32_e32 v112, v112
	v_dot4_i32_i8 v114, v114, v8, 0
	v_and_b32_e32 v115, 0xf0f0f0f, v115
	v_cvt_f32_i32_e32 v113, v113
	v_dot4_i32_i8 v115, v115, v9, 0
	v_cvt_f32_i32_e32 v114, v114
	v_cvt_f32_i32_e32 v115, v115
	v_fma_f32 v112, v2, v112, -v3
	v_fma_f32 v113, v2, v113, -v3
	s_waitcnt vmcnt(1)
	v_fma_mix_f32 v112, v112, v116, 0 op_sel_hi:[0,1,0]
	v_fma_mix_f32 v112, v113, v116, v112 op_sel_hi:[0,1,0]
	v_fma_f32 v113, v4, v114, -v5
	v_fma_f32 v115, v4, v115, -v5
	s_waitcnt vmcnt(0)
	v_fma_mix_f32 v112, v113, v117, v112 op_sel_hi:[0,1,0]
	v_fma_mix_f32 v112, v115, v117, v112 op_sel_hi:[0,1,0]
	ds_bpermute_b32 v113, v96, v112
	s_waitcnt lgkmcnt(0)
	v_add_f32_e32 v112, v112, v113
	ds_bpermute_b32 v113, v97, v112
	s_waitcnt lgkmcnt(0)
	v_add_f32_e32 v112, v112, v113
	s_cbranch_vccnz .LBB0_25
; %bb.24:                               ;   in Loop: Header=BB0_19 Depth=1
	global_load_ushort v113, v[10:11], off offset:-2
	s_waitcnt vmcnt(0)
	v_fma_mix_f32 v112, v12, v113, v112 op_sel_hi:[0,1,0]
.LBB0_25:                               ;   in Loop: Header=BB0_19 Depth=1
	v_add_co_u32_e32 v113, vcc, s18, v17
	v_addc_co_u32_e32 v114, vcc, 0, v18, vcc
	global_load_dword v115, v[113:114], off offset:2
	global_load_dword v116, v[113:114], off offset:20
	v_add_co_u32_e32 v113, vcc, s18, v19
	v_addc_co_u32_e32 v114, vcc, 0, v20, vcc
	global_load_ushort v117, v[113:114], off
	global_load_ushort v118, v[113:114], off offset:18
	s_and_b64 vcc, exec, s[12:13]
	s_waitcnt vmcnt(3)
	v_and_b32_e32 v113, 0xf0f0f0f, v115
	v_lshrrev_b32_e32 v114, 4, v115
	v_dot4_i32_i8 v113, v113, v6, 0
	v_and_b32_e32 v114, 0xf0f0f0f, v114
	s_waitcnt vmcnt(2)
	v_and_b32_e32 v115, 0xf0f0f0f, v116
	v_lshrrev_b32_e32 v116, 4, v116
	v_dot4_i32_i8 v114, v114, v7, 0
	v_cvt_f32_i32_e32 v113, v113
	v_dot4_i32_i8 v115, v115, v8, 0
	v_and_b32_e32 v116, 0xf0f0f0f, v116
	v_cvt_f32_i32_e32 v114, v114
	v_dot4_i32_i8 v116, v116, v9, 0
	v_cvt_f32_i32_e32 v115, v115
	v_cvt_f32_i32_e32 v116, v116
	v_fma_f32 v113, v2, v113, -v3
	v_fma_f32 v114, v2, v114, -v3
	s_waitcnt vmcnt(1)
	v_fma_mix_f32 v113, v113, v117, 0 op_sel_hi:[0,1,0]
	v_fma_mix_f32 v113, v114, v117, v113 op_sel_hi:[0,1,0]
	v_fma_f32 v114, v4, v115, -v5
	v_fma_f32 v116, v4, v116, -v5
	s_waitcnt vmcnt(0)
	v_fma_mix_f32 v113, v114, v118, v113 op_sel_hi:[0,1,0]
	v_fma_mix_f32 v113, v116, v118, v113 op_sel_hi:[0,1,0]
	ds_bpermute_b32 v114, v96, v113
	s_waitcnt lgkmcnt(0)
	v_add_f32_e32 v113, v113, v114
	ds_bpermute_b32 v114, v97, v113
	s_waitcnt lgkmcnt(0)
	v_add_f32_e32 v113, v113, v114
	s_cbranch_vccnz .LBB0_27
; %bb.26:                               ;   in Loop: Header=BB0_19 Depth=1
	global_load_ushort v114, v[10:11], off
	s_waitcnt vmcnt(0)
	v_fma_mix_f32 v113, v12, v114, v113 op_sel_hi:[0,1,0]
.LBB0_27:                               ;   in Loop: Header=BB0_19 Depth=1
	v_add_f32_e32 v114, 0x40051340, v107
	v_add_f32_e32 v115, 0x40051340, v111
	v_max3_f32 v114, v110, v114, v115
	v_add_f32_e32 v115, 0x40051340, v112
	v_add_f32_e32 v116, 0x40051340, v113
	v_max3_f32 v114, v114, v115, v116
	ds_bpermute_b32 v115, v98, v114
	v_cndmask_b32_e64 v106, v106, v107, s[14:15]
	v_cndmask_b32_e64 v106, v106, v111, s[8:9]
	;; [unrolled: 1-line block ×4, first 2 shown]
	s_waitcnt lgkmcnt(0)
	v_max_f32_e32 v115, v115, v115
	v_max_f32_e32 v118, v114, v115
	ds_bpermute_b32 v119, v99, v118
	v_add_co_u32_e32 v114, vcc, s17, v94
	v_addc_co_u32_e32 v115, vcc, 0, v95, vcc
	v_add_co_u32_e32 v116, vcc, s17, v92
	v_addc_co_u32_e32 v117, vcc, 0, v93, vcc
	global_load_ushort v120, v[114:115], off
	global_load_dword v121, v[116:117], off offset:2
	s_waitcnt lgkmcnt(0)
	v_max_f32_e32 v114, v119, v119
	v_max_f32_e32 v114, v118, v114
	ds_bpermute_b32 v115, v100, v114
	s_add_i32 s16, s16, s36
	s_cmp_ge_i32 s16, s42
	s_waitcnt lgkmcnt(0)
	v_max_f32_e32 v107, v115, v115
	v_max_f32_e32 v107, v114, v107
	v_sub_f32_e32 v114, v110, v107
	v_mul_f32_e32 v110, 0x3fb8aa3b, v114
	v_fma_f32 v115, v114, s21, -v110
	v_rndne_f32_e32 v116, v110
	v_fmac_f32_e32 v115, 0x32a5705f, v114
	v_sub_f32_e32 v110, v110, v116
	v_add_f32_e32 v110, v110, v115
	v_exp_f32_e32 v110, v110
	v_cvt_i32_f32_e32 v115, v116
	v_sub_f32_e32 v106, v106, v107
	v_mul_f32_e32 v116, 0x3fb8aa3b, v106
	v_ldexp_f32 v115, v110, v115
	v_add_co_u32_e32 v110, vcc, s17, v90
	v_addc_co_u32_e32 v111, vcc, 0, v91, vcc
	v_add_co_u32_e32 v112, vcc, s17, v88
	v_addc_co_u32_e32 v113, vcc, 0, v89, vcc
	global_load_ushort v117, v[110:111], off
	global_load_dword v118, v[112:113], off offset:2
	v_fma_f32 v110, v106, s21, -v116
	v_rndne_f32_e32 v111, v116
	v_fmac_f32_e32 v110, 0x32a5705f, v106
	v_sub_f32_e32 v112, v116, v111
	v_add_f32_e32 v110, v112, v110
	v_exp_f32_e32 v110, v110
	v_cvt_i32_f32_e32 v111, v111
	v_cmp_ngt_f32_e32 vcc, s37, v114
	v_cndmask_b32_e32 v112, 0, v115, vcc
	v_cmp_nlt_f32_e32 vcc, s38, v114
	v_cndmask_b32_e32 v114, v105, v112, vcc
	v_ldexp_f32 v110, v110, v111
	v_cmp_ngt_f32_e32 vcc, s37, v106
	v_cndmask_b32_e32 v115, 0, v110, vcc
	v_add_co_u32_e32 v110, vcc, s17, v86
	v_addc_co_u32_e32 v111, vcc, 0, v87, vcc
	v_add_co_u32_e32 v112, vcc, s17, v84
	v_addc_co_u32_e32 v113, vcc, 0, v85, vcc
	global_load_ushort v119, v[110:111], off
	global_load_dword v122, v[112:113], off offset:2
	v_cmp_nlt_f32_e32 vcc, s38, v106
	v_cndmask_b32_e32 v106, v105, v115, vcc
	v_cvt_f16_f32_e32 v116, v114
	v_cvt_f16_f32_e32 v110, v106
	v_fma_f32 v47, v47, v114, v106
	v_mul_u32_u24_e32 v111, 0x10001, v116
	ds_write_b16 v14, v110
	v_pk_mul_f16 v112, v109, v111
	v_pk_mul_f16 v111, v108, v111
	ds_read_u16 v109, v101
	ds_read_u16 v113, v101 offset:16
	ds_read_u16 v114, v101 offset:32
	ds_read_u16 v108, v101 offset:48
	ds_read_u16 v115, v102 offset:4
	ds_read_u16 v116, v102 offset:8
	ds_read_u16 v123, v102 offset:12
	ds_read_u16 v124, v102 offset:20
	s_waitcnt lgkmcnt(7)
	v_mul_u32_u24_e32 v125, 0x10001, v109
	v_add_co_u32_e32 v109, vcc, s17, v80
	v_addc_co_u32_e32 v110, vcc, 0, v81, vcc
	global_load_dword v128, v[109:110], off offset:2
	s_waitcnt lgkmcnt(3)
	v_mul_u32_u24_e32 v115, 0x10001, v115
	s_waitcnt lgkmcnt(2)
	v_mul_u32_u24_e32 v116, 0x10001, v116
	v_mul_u32_u24_e32 v113, 0x10001, v113
	;; [unrolled: 1-line block ×4, first 2 shown]
	s_waitcnt vmcnt(6)
	v_mul_u32_u24_e32 v120, 0x10001, v120
	s_waitcnt vmcnt(5)
	v_pk_lshrrev_b16 v126, 8, v121 op_sel:[1,0] op_sel_hi:[0,0]
	v_lshrrev_b32_e32 v127, 16, v126
	v_cvt_f16_i16_sdwa v109, sext(v126) dst_sel:DWORD dst_unused:UNUSED_PAD src0_sel:BYTE_0
	v_cvt_f16_i16_sdwa v110, sext(v127) dst_sel:DWORD dst_unused:UNUSED_PAD src0_sel:BYTE_0
	v_pack_b32_f16 v109, v109, v110
	v_pk_mul_f16 v126, v109, v120
	v_add_co_u32_e32 v109, vcc, s17, v82
	v_pk_lshrrev_b16 v121, 8, v121 op_sel:[1,1] op_sel_hi:[0,1]
	v_addc_co_u32_e32 v110, vcc, 0, v83, vcc
	global_load_ushort v127, v[109:110], off
	v_lshrrev_b32_e32 v109, 16, v121
	v_cvt_f16_i16_sdwa v110, sext(v121) dst_sel:DWORD dst_unused:UNUSED_PAD src0_sel:BYTE_0
	v_cvt_f16_i16_sdwa v109, sext(v109) dst_sel:DWORD dst_unused:UNUSED_PAD src0_sel:BYTE_0
	v_pack_b32_f16 v109, v110, v109
	v_pk_mul_f16 v109, v109, v120
	v_pk_fma_f16 v111, v109, v125, v111
	v_add_co_u32_e32 v109, vcc, s17, v76
	v_addc_co_u32_e32 v110, vcc, 0, v77, vcc
	global_load_dword v120, v[109:110], off offset:2
	v_add_co_u32_e32 v109, vcc, s17, v78
	v_addc_co_u32_e32 v110, vcc, 0, v79, vcc
	global_load_ushort v121, v[109:110], off
	v_pk_fma_f16 v112, v126, v125, v112
	s_waitcnt vmcnt(7)
	v_mul_u32_u24_e32 v109, 0x10001, v117
	s_waitcnt vmcnt(6)
	v_pk_lshrrev_b16 v110, 8, v118 op_sel:[1,0] op_sel_hi:[0,0]
	v_lshrrev_b32_e32 v117, 16, v110
	v_cvt_f16_i16_sdwa v110, sext(v110) dst_sel:DWORD dst_unused:UNUSED_PAD src0_sel:BYTE_0
	v_cvt_f16_i16_sdwa v117, sext(v117) dst_sel:DWORD dst_unused:UNUSED_PAD src0_sel:BYTE_0
	v_pack_b32_f16 v110, v110, v117
	v_pk_lshrrev_b16 v117, 8, v118 op_sel:[1,1] op_sel_hi:[0,1]
	v_lshrrev_b32_e32 v118, 16, v117
	v_cvt_f16_i16_sdwa v117, sext(v117) dst_sel:DWORD dst_unused:UNUSED_PAD src0_sel:BYTE_0
	v_cvt_f16_i16_sdwa v118, sext(v118) dst_sel:DWORD dst_unused:UNUSED_PAD src0_sel:BYTE_0
	v_pack_b32_f16 v117, v117, v118
	v_pk_mul_f16 v110, v110, v109
	v_pk_mul_f16 v109, v117, v109
	v_pk_fma_f16 v117, v110, v115, v112
	v_pk_fma_f16 v115, v109, v115, v111
	v_add_co_u32_e32 v109, vcc, s17, v74
	v_addc_co_u32_e32 v110, vcc, 0, v75, vcc
	v_add_co_u32_e32 v111, vcc, s17, v72
	v_addc_co_u32_e32 v112, vcc, 0, v73, vcc
	global_load_ushort v118, v[109:110], off
	global_load_dword v125, v[111:112], off offset:2
	s_waitcnt vmcnt(6)
	v_pk_lshrrev_b16 v110, 8, v122 op_sel:[1,0] op_sel_hi:[0,0]
	v_lshrrev_b32_e32 v111, 16, v110
	v_cvt_f16_i16_sdwa v110, sext(v110) dst_sel:DWORD dst_unused:UNUSED_PAD src0_sel:BYTE_0
	v_cvt_f16_i16_sdwa v111, sext(v111) dst_sel:DWORD dst_unused:UNUSED_PAD src0_sel:BYTE_0
	v_pack_b32_f16 v110, v110, v111
	v_pk_lshrrev_b16 v111, 8, v122 op_sel:[1,1] op_sel_hi:[0,1]
	v_lshrrev_b32_e32 v112, 16, v111
	v_cvt_f16_i16_sdwa v111, sext(v111) dst_sel:DWORD dst_unused:UNUSED_PAD src0_sel:BYTE_0
	v_cvt_f16_i16_sdwa v112, sext(v112) dst_sel:DWORD dst_unused:UNUSED_PAD src0_sel:BYTE_0
	v_mul_u32_u24_e32 v109, 0x10001, v119
	v_pack_b32_f16 v111, v111, v112
	v_pk_mul_f16 v110, v110, v109
	v_pk_mul_f16 v109, v111, v109
	v_pk_fma_f16 v115, v109, v116, v115
	v_add_co_u32_e32 v109, vcc, s17, v70
	v_pk_fma_f16 v117, v110, v116, v117
	v_addc_co_u32_e32 v110, vcc, 0, v71, vcc
	v_add_co_u32_e32 v111, vcc, s17, v68
	v_addc_co_u32_e32 v112, vcc, 0, v69, vcc
	global_load_ushort v116, v[109:110], off
	global_load_dword v119, v[111:112], off offset:2
	s_waitcnt vmcnt(7)
	v_pk_lshrrev_b16 v109, 8, v128 op_sel:[1,0] op_sel_hi:[0,0]
	v_lshrrev_b32_e32 v110, 16, v109
	v_cvt_f16_i16_sdwa v109, sext(v109) dst_sel:DWORD dst_unused:UNUSED_PAD src0_sel:BYTE_0
	v_cvt_f16_i16_sdwa v110, sext(v110) dst_sel:DWORD dst_unused:UNUSED_PAD src0_sel:BYTE_0
	v_pack_b32_f16 v111, v109, v110
	v_add_co_u32_e32 v109, vcc, s17, v66
	v_addc_co_u32_e32 v110, vcc, 0, v67, vcc
	global_load_ushort v122, v[109:110], off
	v_add_co_u32_e32 v109, vcc, s17, v64
	v_addc_co_u32_e32 v110, vcc, 0, v65, vcc
	global_load_dword v126, v[109:110], off offset:2
	v_pk_lshrrev_b16 v109, 8, v128 op_sel:[1,1] op_sel_hi:[0,1]
	v_lshrrev_b32_e32 v110, 16, v109
	v_cvt_f16_i16_sdwa v109, sext(v109) dst_sel:DWORD dst_unused:UNUSED_PAD src0_sel:BYTE_0
	v_cvt_f16_i16_sdwa v110, sext(v110) dst_sel:DWORD dst_unused:UNUSED_PAD src0_sel:BYTE_0
	v_pack_b32_f16 v109, v109, v110
	s_waitcnt vmcnt(8)
	v_mul_u32_u24_e32 v112, 0x10001, v127
	s_waitcnt lgkmcnt(1)
	v_mul_u32_u24_e32 v110, 0x10001, v123
	v_pk_mul_f16 v109, v109, v112
	v_pk_mul_f16 v111, v111, v112
	v_pk_fma_f16 v112, v109, v110, v115
	s_waitcnt vmcnt(7)
	v_pk_lshrrev_b16 v109, 8, v120 op_sel:[1,0] op_sel_hi:[0,0]
	v_pk_fma_f16 v111, v111, v110, v117
	v_lshrrev_b32_e32 v110, 16, v109
	v_cvt_f16_i16_sdwa v109, sext(v109) dst_sel:DWORD dst_unused:UNUSED_PAD src0_sel:BYTE_0
	v_cvt_f16_i16_sdwa v110, sext(v110) dst_sel:DWORD dst_unused:UNUSED_PAD src0_sel:BYTE_0
	v_pack_b32_f16 v115, v109, v110
	v_add_co_u32_e32 v109, vcc, s17, v62
	v_addc_co_u32_e32 v110, vcc, 0, v63, vcc
	global_load_ushort v117, v[109:110], off
	v_add_co_u32_e32 v109, vcc, s17, v60
	v_addc_co_u32_e32 v110, vcc, 0, v61, vcc
	global_load_dword v123, v[109:110], off offset:2
	v_pk_lshrrev_b16 v109, 8, v120 op_sel:[1,1] op_sel_hi:[0,1]
	v_lshrrev_b32_e32 v110, 16, v109
	v_cvt_f16_i16_sdwa v109, sext(v109) dst_sel:DWORD dst_unused:UNUSED_PAD src0_sel:BYTE_0
	v_cvt_f16_i16_sdwa v110, sext(v110) dst_sel:DWORD dst_unused:UNUSED_PAD src0_sel:BYTE_0
	s_waitcnt vmcnt(8)
	v_mul_u32_u24_e32 v121, 0x10001, v121
	v_pack_b32_f16 v109, v109, v110
	v_pk_mul_f16 v115, v115, v121
	v_pk_mul_f16 v109, v109, v121
	v_pk_fma_f16 v111, v115, v113, v111
	v_pk_fma_f16 v109, v109, v113, v112
	s_waitcnt lgkmcnt(0)
	v_mul_u32_u24_e32 v112, 0x10001, v124
	ds_read_u16 v110, v102 offset:24
	ds_read_u16 v120, v102 offset:28
	;; [unrolled: 1-line block ×8, first 2 shown]
	s_waitcnt vmcnt(7)
	v_mul_u32_u24_e32 v113, 0x10001, v118
	s_waitcnt vmcnt(6)
	v_pk_lshrrev_b16 v115, 8, v125 op_sel:[1,0] op_sel_hi:[0,0]
	v_lshrrev_b32_e32 v118, 16, v115
	v_cvt_f16_i16_sdwa v115, sext(v115) dst_sel:DWORD dst_unused:UNUSED_PAD src0_sel:BYTE_0
	v_cvt_f16_i16_sdwa v118, sext(v118) dst_sel:DWORD dst_unused:UNUSED_PAD src0_sel:BYTE_0
	v_pack_b32_f16 v115, v115, v118
	v_pk_lshrrev_b16 v118, 8, v125 op_sel:[1,1] op_sel_hi:[0,1]
	v_lshrrev_b32_e32 v121, 16, v118
	v_cvt_f16_i16_sdwa v118, sext(v118) dst_sel:DWORD dst_unused:UNUSED_PAD src0_sel:BYTE_0
	v_cvt_f16_i16_sdwa v121, sext(v121) dst_sel:DWORD dst_unused:UNUSED_PAD src0_sel:BYTE_0
	v_pack_b32_f16 v118, v118, v121
	v_pk_mul_f16 v115, v115, v113
	v_pk_mul_f16 v113, v118, v113
	v_pk_fma_f16 v113, v113, v112, v109
	v_add_co_u32_e32 v109, vcc, s17, v58
	s_waitcnt lgkmcnt(7)
	v_mul_u32_u24_e32 v118, 0x10001, v110
	v_addc_co_u32_e32 v110, vcc, 0, v59, vcc
	v_pk_fma_f16 v115, v115, v112, v111
	v_add_co_u32_e32 v111, vcc, s17, v56
	v_addc_co_u32_e32 v112, vcc, 0, v57, vcc
	global_load_ushort v121, v[109:110], off
	global_load_dword v124, v[111:112], off offset:2
	s_waitcnt vmcnt(6)
	v_pk_lshrrev_b16 v110, 8, v119 op_sel:[1,0] op_sel_hi:[0,0]
	v_lshrrev_b32_e32 v111, 16, v110
	v_cvt_f16_i16_sdwa v110, sext(v110) dst_sel:DWORD dst_unused:UNUSED_PAD src0_sel:BYTE_0
	v_cvt_f16_i16_sdwa v111, sext(v111) dst_sel:DWORD dst_unused:UNUSED_PAD src0_sel:BYTE_0
	v_pack_b32_f16 v110, v110, v111
	v_pk_lshrrev_b16 v111, 8, v119 op_sel:[1,1] op_sel_hi:[0,1]
	v_lshrrev_b32_e32 v112, 16, v111
	v_cvt_f16_i16_sdwa v111, sext(v111) dst_sel:DWORD dst_unused:UNUSED_PAD src0_sel:BYTE_0
	v_cvt_f16_i16_sdwa v112, sext(v112) dst_sel:DWORD dst_unused:UNUSED_PAD src0_sel:BYTE_0
	v_mul_u32_u24_e32 v109, 0x10001, v116
	v_pack_b32_f16 v111, v111, v112
	v_pk_mul_f16 v110, v110, v109
	v_pk_mul_f16 v109, v111, v109
	v_pk_fma_f16 v113, v109, v118, v113
	v_pk_fma_f16 v115, v110, v118, v115
	s_waitcnt vmcnt(4)
	v_pk_lshrrev_b16 v109, 8, v126 op_sel:[1,0] op_sel_hi:[0,0]
	v_lshrrev_b32_e32 v110, 16, v109
	v_cvt_f16_i16_sdwa v109, sext(v109) dst_sel:DWORD dst_unused:UNUSED_PAD src0_sel:BYTE_0
	v_cvt_f16_i16_sdwa v110, sext(v110) dst_sel:DWORD dst_unused:UNUSED_PAD src0_sel:BYTE_0
	v_mul_u32_u24_e32 v118, 0x10001, v122
	v_pack_b32_f16 v109, v109, v110
	v_pk_mul_f16 v119, v109, v118
	v_pk_lshrrev_b16 v109, 8, v126 op_sel:[1,1] op_sel_hi:[0,1]
	s_waitcnt lgkmcnt(6)
	v_mul_u32_u24_e32 v116, 0x10001, v120
	v_lshrrev_b32_e32 v120, 16, v109
	v_cvt_f16_i16_sdwa v122, sext(v109) dst_sel:DWORD dst_unused:UNUSED_PAD src0_sel:BYTE_0
	v_add_co_u32_e32 v109, vcc, s17, v54
	v_addc_co_u32_e32 v110, vcc, 0, v55, vcc
	v_add_co_u32_e32 v111, vcc, s17, v52
	v_addc_co_u32_e32 v112, vcc, 0, v53, vcc
	global_load_ushort v125, v[109:110], off
	global_load_dword v126, v[111:112], off offset:2
	v_cvt_f16_i16_sdwa v109, sext(v120) dst_sel:DWORD dst_unused:UNUSED_PAD src0_sel:BYTE_0
	v_pack_b32_f16 v109, v122, v109
	v_pk_mul_f16 v109, v109, v118
	v_pk_fma_f16 v113, v109, v116, v113
	v_pk_fma_f16 v115, v119, v116, v115
	s_waitcnt vmcnt(5)
	v_mul_u32_u24_e32 v116, 0x10001, v117
	s_waitcnt vmcnt(4)
	v_pk_lshrrev_b16 v109, 8, v123 op_sel:[1,0] op_sel_hi:[0,0]
	v_lshrrev_b32_e32 v110, 16, v109
	v_cvt_f16_i16_sdwa v109, sext(v109) dst_sel:DWORD dst_unused:UNUSED_PAD src0_sel:BYTE_0
	v_cvt_f16_i16_sdwa v110, sext(v110) dst_sel:DWORD dst_unused:UNUSED_PAD src0_sel:BYTE_0
	v_pack_b32_f16 v109, v109, v110
	v_pk_mul_f16 v117, v109, v116
	v_pk_lshrrev_b16 v109, 8, v123 op_sel:[1,1] op_sel_hi:[0,1]
	v_lshrrev_b32_e32 v118, 16, v109
	v_cvt_f16_i16_sdwa v119, sext(v109) dst_sel:DWORD dst_unused:UNUSED_PAD src0_sel:BYTE_0
	v_add_co_u32_e32 v109, vcc, s17, v50
	v_addc_co_u32_e32 v110, vcc, 0, v51, vcc
	v_add_co_u32_e32 v111, vcc, s17, v48
	v_addc_co_u32_e32 v112, vcc, 0, v49, vcc
	global_load_ushort v120, v[109:110], off
	global_load_dword v122, v[111:112], off offset:2
	v_cvt_f16_i16_sdwa v109, sext(v118) dst_sel:DWORD dst_unused:UNUSED_PAD src0_sel:BYTE_0
	v_pack_b32_f16 v109, v119, v109
	v_pk_mul_f16 v109, v109, v116
	v_pk_fma_f16 v113, v109, v114, v113
	v_add_co_u32_e32 v109, vcc, s17, v45
	v_addc_co_u32_e32 v110, vcc, 0, v46, vcc
	v_add_co_u32_e32 v111, vcc, s17, v43
	v_pk_fma_f16 v115, v117, v114, v115
	v_addc_co_u32_e32 v112, vcc, 0, v44, vcc
	global_load_ushort v116, v[109:110], off
	global_load_dword v117, v[111:112], off offset:2
	s_waitcnt lgkmcnt(5)
	v_mul_u32_u24_e32 v114, 0x10001, v127
	s_waitcnt vmcnt(7)
	v_mul_u32_u24_e32 v118, 0x10001, v121
	s_waitcnt vmcnt(6)
	v_pk_lshrrev_b16 v109, 8, v124 op_sel:[1,0] op_sel_hi:[0,0]
	v_lshrrev_b32_e32 v110, 16, v109
	v_cvt_f16_i16_sdwa v109, sext(v109) dst_sel:DWORD dst_unused:UNUSED_PAD src0_sel:BYTE_0
	v_cvt_f16_i16_sdwa v110, sext(v110) dst_sel:DWORD dst_unused:UNUSED_PAD src0_sel:BYTE_0
	v_pack_b32_f16 v119, v109, v110
	v_add_co_u32_e32 v109, vcc, s17, v41
	v_addc_co_u32_e32 v110, vcc, 0, v42, vcc
	v_add_co_u32_e32 v111, vcc, s17, v39
	v_addc_co_u32_e32 v112, vcc, 0, v40, vcc
	global_load_ushort v121, v[109:110], off
	global_load_dword v123, v[111:112], off offset:2
	v_pk_lshrrev_b16 v109, 8, v124 op_sel:[1,1] op_sel_hi:[0,1]
	v_lshrrev_b32_e32 v110, 16, v109
	v_cvt_f16_i16_sdwa v109, sext(v109) dst_sel:DWORD dst_unused:UNUSED_PAD src0_sel:BYTE_0
	v_cvt_f16_i16_sdwa v110, sext(v110) dst_sel:DWORD dst_unused:UNUSED_PAD src0_sel:BYTE_0
	v_pack_b32_f16 v124, v109, v110
	v_add_co_u32_e32 v109, vcc, s17, v37
	v_addc_co_u32_e32 v110, vcc, 0, v38, vcc
	v_add_co_u32_e32 v111, vcc, s17, v35
	v_addc_co_u32_e32 v112, vcc, 0, v36, vcc
	global_load_ushort v127, v[109:110], off
	global_load_dword v133, v[111:112], off offset:2
	v_pk_mul_f16 v109, v124, v118
	v_pk_fma_f16 v113, v109, v114, v113
	v_add_co_u32_e32 v109, vcc, s17, v33
	v_addc_co_u32_e32 v110, vcc, 0, v34, vcc
	v_add_co_u32_e32 v111, vcc, s17, v31
	v_addc_co_u32_e32 v112, vcc, 0, v32, vcc
	global_load_ushort v109, v[109:110], off
	s_nop 0
	global_load_dword v110, v[111:112], off offset:2
	v_pk_mul_f16 v119, v119, v118
	v_pk_fma_f16 v115, v119, v114, v115
	s_waitcnt vmcnt(10)
	v_pk_lshrrev_b16 v119, 8, v126 op_sel:[1,0] op_sel_hi:[0,0]
	v_lshrrev_b32_e32 v111, 16, v119
	v_cvt_f16_i16_sdwa v112, sext(v119) dst_sel:DWORD dst_unused:UNUSED_PAD src0_sel:BYTE_0
	v_cvt_f16_i16_sdwa v111, sext(v111) dst_sel:DWORD dst_unused:UNUSED_PAD src0_sel:BYTE_0
	v_pack_b32_f16 v111, v112, v111
	v_pk_lshrrev_b16 v112, 8, v126 op_sel:[1,1] op_sel_hi:[0,1]
	v_mul_u32_u24_e32 v118, 0x10001, v125
	v_lshrrev_b32_e32 v119, 16, v112
	s_waitcnt lgkmcnt(4)
	v_mul_u32_u24_e32 v114, 0x10001, v128
	v_pk_mul_f16 v111, v111, v118
	v_cvt_f16_i16_sdwa v112, sext(v112) dst_sel:DWORD dst_unused:UNUSED_PAD src0_sel:BYTE_0
	v_cvt_f16_i16_sdwa v119, sext(v119) dst_sel:DWORD dst_unused:UNUSED_PAD src0_sel:BYTE_0
	v_pack_b32_f16 v112, v112, v119
	v_pk_fma_f16 v111, v111, v114, v115
	v_pk_mul_f16 v112, v112, v118
	v_pk_fma_f16 v112, v112, v114, v113
	s_waitcnt lgkmcnt(3)
	v_mul_u32_u24_e32 v113, 0x10001, v129
	s_waitcnt vmcnt(9)
	v_mul_u32_u24_e32 v114, 0x10001, v120
	s_waitcnt vmcnt(8)
	v_pk_lshrrev_b16 v115, 8, v122 op_sel:[1,0] op_sel_hi:[0,0]
	v_lshrrev_b32_e32 v118, 16, v115
	v_cvt_f16_i16_sdwa v115, sext(v115) dst_sel:DWORD dst_unused:UNUSED_PAD src0_sel:BYTE_0
	v_cvt_f16_i16_sdwa v118, sext(v118) dst_sel:DWORD dst_unused:UNUSED_PAD src0_sel:BYTE_0
	v_pack_b32_f16 v115, v115, v118
	v_pk_lshrrev_b16 v118, 8, v122 op_sel:[1,1] op_sel_hi:[0,1]
	v_lshrrev_b32_e32 v119, 16, v118
	v_cvt_f16_i16_sdwa v118, sext(v118) dst_sel:DWORD dst_unused:UNUSED_PAD src0_sel:BYTE_0
	v_cvt_f16_i16_sdwa v119, sext(v119) dst_sel:DWORD dst_unused:UNUSED_PAD src0_sel:BYTE_0
	v_pack_b32_f16 v118, v118, v119
	v_pk_mul_f16 v115, v115, v114
	v_pk_mul_f16 v114, v118, v114
	v_pk_fma_f16 v112, v114, v113, v112
	v_pk_fma_f16 v111, v115, v113, v111
	s_waitcnt vmcnt(6)
	v_pk_lshrrev_b16 v114, 8, v117 op_sel:[1,0] op_sel_hi:[0,0]
	v_lshrrev_b32_e32 v115, 16, v114
	v_cvt_f16_i16_sdwa v114, sext(v114) dst_sel:DWORD dst_unused:UNUSED_PAD src0_sel:BYTE_0
	v_cvt_f16_i16_sdwa v115, sext(v115) dst_sel:DWORD dst_unused:UNUSED_PAD src0_sel:BYTE_0
	v_pack_b32_f16 v114, v114, v115
	v_pk_lshrrev_b16 v115, 8, v117 op_sel:[1,1] op_sel_hi:[0,1]
	v_mul_u32_u24_e32 v113, 0x10001, v116
	v_lshrrev_b32_e32 v116, 16, v115
	v_pk_mul_f16 v114, v114, v113
	v_cvt_f16_i16_sdwa v115, sext(v115) dst_sel:DWORD dst_unused:UNUSED_PAD src0_sel:BYTE_0
	v_cvt_f16_i16_sdwa v116, sext(v116) dst_sel:DWORD dst_unused:UNUSED_PAD src0_sel:BYTE_0
	v_pack_b32_f16 v115, v115, v116
	v_pk_fma_f16 v111, v114, v108, v111
	v_pk_mul_f16 v113, v115, v113
	v_pk_fma_f16 v108, v113, v108, v112
	s_waitcnt lgkmcnt(2)
	v_mul_u32_u24_e32 v112, 0x10001, v130
	v_add_co_u32_e32 v17, vcc, s19, v17
	v_addc_co_u32_e32 v18, vcc, 0, v18, vcc
	s_waitcnt vmcnt(4)
	v_pk_lshrrev_b16 v114, 8, v123 op_sel:[1,0] op_sel_hi:[0,0]
	v_lshrrev_b32_e32 v115, 16, v114
	v_cvt_f16_i16_sdwa v114, sext(v114) dst_sel:DWORD dst_unused:UNUSED_PAD src0_sel:BYTE_0
	v_cvt_f16_i16_sdwa v115, sext(v115) dst_sel:DWORD dst_unused:UNUSED_PAD src0_sel:BYTE_0
	v_pack_b32_f16 v114, v114, v115
	v_pk_lshrrev_b16 v115, 8, v123 op_sel:[1,1] op_sel_hi:[0,1]
	v_mul_u32_u24_e32 v113, 0x10001, v121
	v_lshrrev_b32_e32 v116, 16, v115
	v_pk_mul_f16 v114, v114, v113
	v_cvt_f16_i16_sdwa v115, sext(v115) dst_sel:DWORD dst_unused:UNUSED_PAD src0_sel:BYTE_0
	v_cvt_f16_i16_sdwa v116, sext(v116) dst_sel:DWORD dst_unused:UNUSED_PAD src0_sel:BYTE_0
	v_pack_b32_f16 v115, v115, v116
	v_pk_fma_f16 v111, v114, v112, v111
	v_pk_mul_f16 v113, v115, v113
	s_waitcnt vmcnt(2)
	v_pk_lshrrev_b16 v114, 8, v133 op_sel:[1,0] op_sel_hi:[0,0]
	v_lshrrev_b32_e32 v115, 16, v114
	v_cvt_f16_i16_sdwa v114, sext(v114) dst_sel:DWORD dst_unused:UNUSED_PAD src0_sel:BYTE_0
	v_cvt_f16_i16_sdwa v115, sext(v115) dst_sel:DWORD dst_unused:UNUSED_PAD src0_sel:BYTE_0
	v_pack_b32_f16 v114, v114, v115
	v_pk_lshrrev_b16 v115, 8, v133 op_sel:[1,1] op_sel_hi:[0,1]
	v_lshrrev_b32_e32 v116, 16, v115
	v_cvt_f16_i16_sdwa v115, sext(v115) dst_sel:DWORD dst_unused:UNUSED_PAD src0_sel:BYTE_0
	v_cvt_f16_i16_sdwa v116, sext(v116) dst_sel:DWORD dst_unused:UNUSED_PAD src0_sel:BYTE_0
	v_pk_fma_f16 v108, v113, v112, v108
	v_mul_u32_u24_e32 v113, 0x10001, v127
	v_pack_b32_f16 v115, v115, v116
	s_waitcnt lgkmcnt(1)
	v_mul_u32_u24_e32 v112, 0x10001, v131
	v_pk_mul_f16 v114, v114, v113
	v_pk_mul_f16 v113, v115, v113
	v_pk_fma_f16 v108, v113, v112, v108
	s_waitcnt vmcnt(0)
	v_pk_lshrrev_b16 v113, 8, v110 op_sel:[1,0] op_sel_hi:[0,0]
	v_pk_fma_f16 v111, v114, v112, v111
	v_lshrrev_b32_e32 v114, 16, v113
	v_cvt_f16_i16_sdwa v113, sext(v113) dst_sel:DWORD dst_unused:UNUSED_PAD src0_sel:BYTE_0
	v_cvt_f16_i16_sdwa v114, sext(v114) dst_sel:DWORD dst_unused:UNUSED_PAD src0_sel:BYTE_0
	v_pk_lshrrev_b16 v110, 8, v110 op_sel:[1,1] op_sel_hi:[0,1]
	v_pack_b32_f16 v113, v113, v114
	v_lshrrev_b32_e32 v114, 16, v110
	v_add_co_u32_e32 v19, vcc, s19, v19
	v_cvt_f16_i16_sdwa v110, sext(v110) dst_sel:DWORD dst_unused:UNUSED_PAD src0_sel:BYTE_0
	v_cvt_f16_i16_sdwa v114, sext(v114) dst_sel:DWORD dst_unused:UNUSED_PAD src0_sel:BYTE_0
	v_addc_co_u32_e32 v20, vcc, 0, v20, vcc
	v_mul_u32_u24_e32 v109, 0x10001, v109
	v_pack_b32_f16 v110, v110, v114
	v_add_co_u32_e32 v21, vcc, s19, v21
	s_waitcnt lgkmcnt(0)
	v_mul_u32_u24_e32 v112, 0x10001, v132
	v_pk_mul_f16 v110, v110, v109
	v_addc_co_u32_e32 v22, vcc, 0, v22, vcc
	v_pk_fma_f16 v108, v110, v112, v108
	v_mov_b32_e32 v110, s23
	v_add_co_u32_e32 v10, vcc, s22, v10
	v_addc_co_u32_e32 v11, vcc, v11, v110, vcc
	v_add_co_u32_e32 v23, vcc, s19, v23
	v_addc_co_u32_e32 v24, vcc, 0, v24, vcc
	v_add_co_u32_e32 v25, vcc, s19, v25
	v_addc_co_u32_e32 v26, vcc, 0, v26, vcc
	v_add_co_u32_e32 v27, vcc, s19, v27
	v_addc_co_u32_e32 v28, vcc, 0, v28, vcc
	v_add_co_u32_e32 v29, vcc, s19, v29
	v_addc_co_u32_e32 v30, vcc, 0, v30, vcc
	v_add_co_u32_e32 v103, vcc, s19, v103
	v_addc_co_u32_e32 v104, vcc, 0, v104, vcc
	v_add_co_u32_e32 v31, vcc, s20, v31
	v_addc_co_u32_e32 v32, vcc, 0, v32, vcc
	v_add_co_u32_e32 v33, vcc, s20, v33
	v_addc_co_u32_e32 v34, vcc, 0, v34, vcc
	v_add_co_u32_e32 v35, vcc, s20, v35
	v_addc_co_u32_e32 v36, vcc, 0, v36, vcc
	v_add_co_u32_e32 v37, vcc, s20, v37
	v_addc_co_u32_e32 v38, vcc, 0, v38, vcc
	v_add_co_u32_e32 v39, vcc, s20, v39
	v_addc_co_u32_e32 v40, vcc, 0, v40, vcc
	v_add_co_u32_e32 v41, vcc, s20, v41
	v_addc_co_u32_e32 v42, vcc, 0, v42, vcc
	v_add_co_u32_e32 v43, vcc, s20, v43
	v_addc_co_u32_e32 v44, vcc, 0, v44, vcc
	v_add_co_u32_e32 v45, vcc, s20, v45
	v_addc_co_u32_e32 v46, vcc, 0, v46, vcc
	v_add_co_u32_e32 v48, vcc, s20, v48
	v_addc_co_u32_e32 v49, vcc, 0, v49, vcc
	v_add_co_u32_e32 v50, vcc, s20, v50
	v_addc_co_u32_e32 v51, vcc, 0, v51, vcc
	v_add_co_u32_e32 v52, vcc, s20, v52
	v_addc_co_u32_e32 v53, vcc, 0, v53, vcc
	v_add_co_u32_e32 v54, vcc, s20, v54
	v_addc_co_u32_e32 v55, vcc, 0, v55, vcc
	v_add_co_u32_e32 v56, vcc, s20, v56
	v_addc_co_u32_e32 v57, vcc, 0, v57, vcc
	v_add_co_u32_e32 v58, vcc, s20, v58
	v_addc_co_u32_e32 v59, vcc, 0, v59, vcc
	v_add_co_u32_e32 v60, vcc, s20, v60
	v_addc_co_u32_e32 v61, vcc, 0, v61, vcc
	v_add_co_u32_e32 v62, vcc, s20, v62
	v_addc_co_u32_e32 v63, vcc, 0, v63, vcc
	v_add_co_u32_e32 v64, vcc, s20, v64
	v_addc_co_u32_e32 v65, vcc, 0, v65, vcc
	v_add_co_u32_e32 v66, vcc, s20, v66
	v_addc_co_u32_e32 v67, vcc, 0, v67, vcc
	v_add_co_u32_e32 v68, vcc, s20, v68
	v_addc_co_u32_e32 v69, vcc, 0, v69, vcc
	v_add_co_u32_e32 v70, vcc, s20, v70
	v_addc_co_u32_e32 v71, vcc, 0, v71, vcc
	v_add_co_u32_e32 v72, vcc, s20, v72
	v_addc_co_u32_e32 v73, vcc, 0, v73, vcc
	v_add_co_u32_e32 v74, vcc, s20, v74
	v_addc_co_u32_e32 v75, vcc, 0, v75, vcc
	v_add_co_u32_e32 v76, vcc, s20, v76
	v_addc_co_u32_e32 v77, vcc, 0, v77, vcc
	v_add_co_u32_e32 v78, vcc, s20, v78
	v_addc_co_u32_e32 v79, vcc, 0, v79, vcc
	v_add_co_u32_e32 v80, vcc, s20, v80
	v_addc_co_u32_e32 v81, vcc, 0, v81, vcc
	v_add_co_u32_e32 v82, vcc, s20, v82
	v_addc_co_u32_e32 v83, vcc, 0, v83, vcc
	v_add_co_u32_e32 v84, vcc, s20, v84
	v_addc_co_u32_e32 v85, vcc, 0, v85, vcc
	v_add_co_u32_e32 v86, vcc, s20, v86
	v_addc_co_u32_e32 v87, vcc, 0, v87, vcc
	v_add_co_u32_e32 v88, vcc, s20, v88
	v_addc_co_u32_e32 v89, vcc, 0, v89, vcc
	v_add_co_u32_e32 v90, vcc, s20, v90
	v_addc_co_u32_e32 v91, vcc, 0, v91, vcc
	v_add_co_u32_e32 v92, vcc, s20, v92
	v_addc_co_u32_e32 v93, vcc, 0, v93, vcc
	v_pk_mul_f16 v113, v113, v109
	v_add_co_u32_e32 v94, vcc, s20, v94
	v_pk_fma_f16 v109, v113, v112, v111
	v_addc_co_u32_e32 v95, vcc, 0, v95, vcc
	s_cbranch_scc1 .LBB0_30
; %bb.28:                               ;   in Loop: Header=BB0_19 Depth=1
	v_mov_b32_e32 v110, v107
	s_branch .LBB0_19
.LBB0_29:
	v_mov_b32_e32 v109, 0
	v_mov_b32_e32 v107, 0xfeffffff
	;; [unrolled: 1-line block ×3, first 2 shown]
.LBB0_30:
	s_cmp_lg_u64 s[24:25], 0
	v_or_b32_e32 v2, s7, v1
	s_cselect_b64 s[2:3], -1, 0
	v_cmp_eq_u32_e32 vcc, 0, v2
	s_and_b64 s[8:9], vcc, s[2:3]
	s_and_saveexec_b64 s[2:3], s[8:9]
	s_cbranch_execz .LBB0_32
; %bb.31:
	s_lshl_b64 s[8:9], s[40:41], 2
	s_add_u32 s8, s24, s8
	s_addc_u32 s9, s25, s9
	s_load_dword s8, s[8:9], 0x0
	v_max_f32_e32 v2, v107, v107
	s_mov_b32 s9, 0x3fb8aa3b
	s_mov_b32 s10, 0x42b17218
	s_waitcnt lgkmcnt(0)
	v_max_f32_e64 v3, s8, s8
	v_max_f32_e32 v2, v2, v3
	v_sub_f32_e32 v3, s8, v2
	v_mul_f32_e32 v4, 0x3fb8aa3b, v3
	v_fma_f32 v5, v3, s9, -v4
	v_rndne_f32_e32 v6, v4
	v_fmac_f32_e32 v5, 0x32a5705f, v3
	v_sub_f32_e32 v4, v4, v6
	v_add_f32_e32 v4, v4, v5
	v_cvt_i32_f32_e32 v5, v6
	v_exp_f32_e32 v4, v4
	s_mov_b32 s8, 0xc2ce8ed0
	v_cmp_ngt_f32_e32 vcc, s8, v3
	v_ldexp_f32 v4, v4, v5
	v_sub_f32_e32 v5, v107, v2
	v_mul_f32_e32 v6, 0x3fb8aa3b, v5
	v_fma_f32 v7, v5, s9, -v6
	v_rndne_f32_e32 v8, v6
	v_fmac_f32_e32 v7, 0x32a5705f, v5
	v_sub_f32_e32 v6, v6, v8
	v_add_f32_e32 v6, v6, v7
	v_exp_f32_e32 v6, v6
	v_cvt_i32_f32_e32 v7, v8
	v_cndmask_b32_e32 v4, 0, v4, vcc
	v_mov_b32_e32 v8, 0x7f800000
	v_cmp_nlt_f32_e32 vcc, s10, v3
	v_cndmask_b32_e32 v3, v8, v4, vcc
	v_ldexp_f32 v4, v6, v7
	v_cmp_ngt_f32_e32 vcc, s8, v5
	v_cndmask_b32_e32 v4, 0, v4, vcc
	v_cmp_nlt_f32_e32 vcc, s10, v5
	v_cndmask_b32_e32 v4, v8, v4, vcc
	v_cvt_f16_f32_e32 v5, v4
	v_cmp_eq_u32_e32 vcc, 0, v0
	v_cndmask_b32_e32 v3, 0, v3, vcc
	v_fmac_f32_e32 v3, v47, v4
	v_mul_u32_u24_e32 v4, 0x10001, v5
	v_pk_mul_f16 v109, v109, v4
	v_pk_mul_f16 v108, v108, v4
	v_mov_b32_e32 v47, v3
	v_mov_b32_e32 v107, v2
.LBB0_32:
	s_or_b64 exec, exec, s[2:3]
	s_and_saveexec_b64 s[2:3], s[0:1]
; %bb.33:
	v_mov_b32_e32 v2, 0xfeffffff
	v_mov_b32_e32 v3, 0
	v_add_u32_e32 v4, 0x400, v15
	ds_write2_b32 v4, v2, v3 offset1:32
; %bb.34:
	s_or_b64 exec, exec, s[2:3]
	v_cmp_eq_u32_e32 vcc, 0, v0
	v_lshlrev_b32_e32 v9, 2, v1
	s_waitcnt lgkmcnt(0)
	s_barrier
	s_and_saveexec_b64 s[0:1], vcc
; %bb.35:
	ds_write_b32 v9, v107 offset:1024
; %bb.36:
	s_or_b64 exec, exec, s[0:1]
	v_mbcnt_hi_u32_b32 v2, -1, v16
	s_waitcnt lgkmcnt(0)
	s_barrier
	v_and_b32_e32 v3, 0x60, v2
	ds_read_b32 v6, v15 offset:1024
	v_add_u32_e32 v3, 32, v3
	v_xor_b32_e32 v4, 16, v2
	v_cmp_lt_i32_e64 s[0:1], v4, v3
	v_cndmask_b32_e64 v4, v2, v4, s[0:1]
	v_lshlrev_b32_e32 v4, 2, v4
	s_waitcnt lgkmcnt(0)
	ds_bpermute_b32 v7, v4, v6
	v_xor_b32_e32 v5, 8, v2
	v_cmp_lt_i32_e64 s[0:1], v5, v3
	v_cndmask_b32_e64 v5, v2, v5, s[0:1]
	v_max_f32_e32 v6, v6, v6
	s_waitcnt lgkmcnt(0)
	v_max_f32_e32 v7, v7, v7
	v_lshlrev_b32_e32 v5, 2, v5
	v_max_f32_e32 v7, v6, v7
	ds_bpermute_b32 v8, v5, v7
	v_xor_b32_e32 v6, 4, v2
	v_cmp_lt_i32_e64 s[0:1], v6, v3
	v_cndmask_b32_e64 v6, v2, v6, s[0:1]
	v_lshlrev_b32_e32 v6, 2, v6
	s_waitcnt lgkmcnt(0)
	v_max_f32_e32 v8, v8, v8
	v_max_f32_e32 v8, v7, v8
	ds_bpermute_b32 v10, v6, v8
	v_xor_b32_e32 v7, 2, v2
	v_cmp_lt_i32_e64 s[0:1], v7, v3
	v_cndmask_b32_e64 v7, v2, v7, s[0:1]
	v_lshlrev_b32_e32 v7, 2, v7
	s_waitcnt lgkmcnt(0)
	v_max_f32_e32 v10, v10, v10
	;; [unrolled: 8-line block ×3, first 2 shown]
	v_max_f32_e32 v2, v10, v2
	ds_bpermute_b32 v3, v8, v2
	s_mov_b32 s0, 0x3fb8aa3b
	v_lshlrev_b32_e32 v0, 3, v0
	s_waitcnt lgkmcnt(0)
	v_max_f32_e32 v3, v3, v3
	v_max_f32_e32 v2, v2, v3
	v_sub_f32_e32 v3, v107, v2
	v_mul_f32_e32 v10, 0x3fb8aa3b, v3
	v_fma_f32 v11, v3, s0, -v10
	v_rndne_f32_e32 v12, v10
	v_fmac_f32_e32 v11, 0x32a5705f, v3
	v_sub_f32_e32 v10, v10, v12
	v_add_f32_e32 v10, v10, v11
	v_exp_f32_e32 v10, v10
	v_cvt_i32_f32_e32 v11, v12
	s_mov_b32 s0, 0xc2ce8ed0
	v_cmp_ngt_f32_e64 s[0:1], s0, v3
	v_and_b32_e32 v12, 0x380, v0
	v_ldexp_f32 v10, v10, v11
	v_cndmask_b32_e64 v10, 0, v10, s[0:1]
	s_mov_b32 s0, 0x42b17218
	v_mov_b32_e32 v11, 0x7f800000
	v_cmp_nlt_f32_e64 s[0:1], s0, v3
	v_cndmask_b32_e64 v3, v11, v10, s[0:1]
	v_mul_f32_e32 v10, v47, v3
	ds_bpermute_b32 v10, v4, v10
	v_lshl_add_u32 v1, v1, 8, v12
	s_movk_i32 s0, 0x78
	v_and_or_b32 v12, v0, s0, v1
	s_waitcnt lgkmcnt(0)
	v_fmac_f32_e32 v10, v47, v3
	ds_bpermute_b32 v11, v5, v10
	v_cvt_f16_f32_e32 v3, v3
	s_waitcnt lgkmcnt(0)
	v_add_f32_e32 v10, v10, v11
	ds_bpermute_b32 v11, v6, v10
	v_mul_u32_u24_e32 v1, 0x10001, v3
	v_pk_mul_f16 v0, v109, v1
	v_pk_mul_f16 v1, v108, v1
	ds_write_b64 v12, v[0:1]
	s_waitcnt lgkmcnt(1)
	v_add_f32_e32 v10, v10, v11
	ds_bpermute_b32 v11, v7, v10
	s_waitcnt lgkmcnt(0)
	v_add_f32_e32 v10, v10, v11
	ds_bpermute_b32 v11, v8, v10
	s_waitcnt lgkmcnt(0)
	v_add_f32_e32 v3, v10, v11
	s_and_saveexec_b64 s[0:1], vcc
; %bb.37:
	ds_write_b32 v9, v3 offset:1152
; %bb.38:
	s_or_b64 exec, exec, s[0:1]
	s_waitcnt lgkmcnt(0)
	s_barrier
	s_load_dword s3, s[4:5], 0xd4
	s_mul_i32 s0, s33, s34
	s_add_i32 s0, s0, s6
	s_mul_i32 s0, s0, s35
	s_add_i32 s0, s0, s40
	v_cmp_gt_u32_e32 vcc, 64, v13
	s_waitcnt lgkmcnt(0)
	s_mul_i32 s2, s3, s0
	s_and_saveexec_b64 s[0:1], vcc
	s_cbranch_execz .LBB0_40
; %bb.39:
	ds_read_b32 v0, v15 offset:1152
	ds_read_u16 v1, v14
	ds_read_u16 v3, v14 offset:128
	ds_read_u16 v9, v14 offset:256
	;; [unrolled: 1-line block ×6, first 2 shown]
	s_waitcnt lgkmcnt(7)
	ds_bpermute_b32 v4, v4, v0
	s_waitcnt lgkmcnt(7)
	v_cvt_f32_f16_e32 v1, v1
	s_waitcnt lgkmcnt(6)
	v_cvt_f32_f16_e32 v3, v3
	ds_read_u16 v14, v14 offset:896
	s_waitcnt lgkmcnt(1)
	v_add_f32_e32 v0, v0, v4
	ds_bpermute_b32 v4, v5, v0
	v_cvt_f32_f16_e32 v5, v9
	v_cvt_f32_f16_e32 v9, v10
	v_add_f32_e32 v1, 0, v1
	v_cvt_f32_f16_e32 v10, v12
	s_waitcnt lgkmcnt(0)
	v_add_f32_e32 v0, v0, v4
	ds_bpermute_b32 v4, v6, v0
	v_cvt_f32_f16_e32 v6, v11
	v_add_f32_e32 v1, v1, v3
	v_cvt_f32_f16_e32 v11, v15
	v_add_f32_e32 v1, v1, v5
	s_waitcnt lgkmcnt(0)
	v_add_f32_e32 v0, v0, v4
	ds_bpermute_b32 v4, v7, v0
	v_cvt_f32_f16_e32 v12, v14
	v_add_f32_e32 v1, v1, v9
	v_add_f32_e32 v1, v1, v6
	;; [unrolled: 1-line block ×3, first 2 shown]
	s_waitcnt lgkmcnt(0)
	v_add_f32_e32 v0, v0, v4
	ds_bpermute_b32 v3, v8, v0
	v_add_f32_e32 v1, v1, v11
	v_add_f32_e32 v4, v1, v12
	s_waitcnt lgkmcnt(0)
	v_add_f32_e32 v3, v0, v3
	v_div_scale_f32 v0, s[4:5], v3, v3, v4
	v_div_scale_f32 v1, vcc, v4, v3, v4
	s_add_i32 s4, s2, s7
	s_cmp_eq_u32 s3, 1
	v_rcp_f32_e32 v5, v0
	v_fma_f32 v6, -v0, v5, 1.0
	v_fmac_f32_e32 v5, v6, v5
	v_mul_f32_e32 v6, v1, v5
	v_fma_f32 v7, -v0, v6, v1
	v_fmac_f32_e32 v6, v7, v5
	v_fma_f32 v0, -v0, v6, v1
	v_div_fmas_f32 v5, v0, v5, v6
	v_mov_b32_e32 v1, 0
	v_lshl_or_b32 v0, s4, 6, v13
	v_lshlrev_b64 v[0:1], 2, v[0:1]
	v_mov_b32_e32 v6, s29
	v_add_co_u32_e32 v0, vcc, s28, v0
	v_addc_co_u32_e32 v1, vcc, v6, v1, vcc
	s_cselect_b64 vcc, -1, 0
	v_div_fixup_f32 v5, v5, v3, v4
	v_cndmask_b32_e32 v4, v4, v5, vcc
	global_store_dword v[0:1], v4, off
.LBB0_40:
	s_or_b64 exec, exec, s[0:1]
	s_cmp_lg_u32 s3, 1
	s_cselect_b64 s[4:5], -1, 0
	v_cmp_eq_u32_e32 vcc, 0, v13
	s_mov_b32 s1, 0
	s_and_b64 s[4:5], vcc, s[4:5]
	s_and_saveexec_b64 s[8:9], s[4:5]
	s_cbranch_execz .LBB0_42
; %bb.41:
	s_add_i32 s0, s2, s7
	s_lshl_b64 s[0:1], s[0:1], 3
	s_add_u32 s0, s30, s0
	s_addc_u32 s1, s31, s1
	v_mov_b32_e32 v0, 0
	global_store_dwordx2 v0, v[2:3], s[0:1]
.LBB0_42:
	s_endpgm
	.section	.rodata,"a",@progbits
	.p2align	6, 0x0
	.amdhsa_kernel _ZL18flash_attn_ext_vecILi64ELi1EL9ggml_type2ELS0_8ELb0EEvPKcS2_S2_S2_S2_PKiPfP15HIP_vector_typeIfLj2EEffffjfiS6_IjLj3EEiiiiiiiiiiiliiliiiiil
		.amdhsa_group_segment_fixed_size 1280
		.amdhsa_private_segment_fixed_size 0
		.amdhsa_kernarg_size 464
		.amdhsa_user_sgpr_count 6
		.amdhsa_user_sgpr_private_segment_buffer 1
		.amdhsa_user_sgpr_dispatch_ptr 0
		.amdhsa_user_sgpr_queue_ptr 0
		.amdhsa_user_sgpr_kernarg_segment_ptr 1
		.amdhsa_user_sgpr_dispatch_id 0
		.amdhsa_user_sgpr_flat_scratch_init 0
		.amdhsa_user_sgpr_private_segment_size 0
		.amdhsa_uses_dynamic_stack 0
		.amdhsa_system_sgpr_private_segment_wavefront_offset 0
		.amdhsa_system_sgpr_workgroup_id_x 1
		.amdhsa_system_sgpr_workgroup_id_y 1
		.amdhsa_system_sgpr_workgroup_id_z 1
		.amdhsa_system_sgpr_workgroup_info 0
		.amdhsa_system_vgpr_workitem_id 1
		.amdhsa_next_free_vgpr 134
		.amdhsa_next_free_sgpr 59
		.amdhsa_reserve_vcc 1
		.amdhsa_reserve_flat_scratch 0
		.amdhsa_float_round_mode_32 0
		.amdhsa_float_round_mode_16_64 0
		.amdhsa_float_denorm_mode_32 3
		.amdhsa_float_denorm_mode_16_64 3
		.amdhsa_dx10_clamp 1
		.amdhsa_ieee_mode 1
		.amdhsa_fp16_overflow 0
		.amdhsa_exception_fp_ieee_invalid_op 0
		.amdhsa_exception_fp_denorm_src 0
		.amdhsa_exception_fp_ieee_div_zero 0
		.amdhsa_exception_fp_ieee_overflow 0
		.amdhsa_exception_fp_ieee_underflow 0
		.amdhsa_exception_fp_ieee_inexact 0
		.amdhsa_exception_int_div_zero 0
	.end_amdhsa_kernel
	.section	.text._ZL18flash_attn_ext_vecILi64ELi1EL9ggml_type2ELS0_8ELb0EEvPKcS2_S2_S2_S2_PKiPfP15HIP_vector_typeIfLj2EEffffjfiS6_IjLj3EEiiiiiiiiiiiliiliiiiil,"axG",@progbits,_ZL18flash_attn_ext_vecILi64ELi1EL9ggml_type2ELS0_8ELb0EEvPKcS2_S2_S2_S2_PKiPfP15HIP_vector_typeIfLj2EEffffjfiS6_IjLj3EEiiiiiiiiiiiliiliiiiil,comdat
.Lfunc_end0:
	.size	_ZL18flash_attn_ext_vecILi64ELi1EL9ggml_type2ELS0_8ELb0EEvPKcS2_S2_S2_S2_PKiPfP15HIP_vector_typeIfLj2EEffffjfiS6_IjLj3EEiiiiiiiiiiiliiliiiiil, .Lfunc_end0-_ZL18flash_attn_ext_vecILi64ELi1EL9ggml_type2ELS0_8ELb0EEvPKcS2_S2_S2_S2_PKiPfP15HIP_vector_typeIfLj2EEffffjfiS6_IjLj3EEiiiiiiiiiiiliiliiiiil
                                        ; -- End function
	.set _ZL18flash_attn_ext_vecILi64ELi1EL9ggml_type2ELS0_8ELb0EEvPKcS2_S2_S2_S2_PKiPfP15HIP_vector_typeIfLj2EEffffjfiS6_IjLj3EEiiiiiiiiiiiliiliiiiil.num_vgpr, 134
	.set _ZL18flash_attn_ext_vecILi64ELi1EL9ggml_type2ELS0_8ELb0EEvPKcS2_S2_S2_S2_PKiPfP15HIP_vector_typeIfLj2EEffffjfiS6_IjLj3EEiiiiiiiiiiiliiliiiiil.num_agpr, 0
	.set _ZL18flash_attn_ext_vecILi64ELi1EL9ggml_type2ELS0_8ELb0EEvPKcS2_S2_S2_S2_PKiPfP15HIP_vector_typeIfLj2EEffffjfiS6_IjLj3EEiiiiiiiiiiiliiliiiiil.numbered_sgpr, 59
	.set _ZL18flash_attn_ext_vecILi64ELi1EL9ggml_type2ELS0_8ELb0EEvPKcS2_S2_S2_S2_PKiPfP15HIP_vector_typeIfLj2EEffffjfiS6_IjLj3EEiiiiiiiiiiiliiliiiiil.num_named_barrier, 0
	.set _ZL18flash_attn_ext_vecILi64ELi1EL9ggml_type2ELS0_8ELb0EEvPKcS2_S2_S2_S2_PKiPfP15HIP_vector_typeIfLj2EEffffjfiS6_IjLj3EEiiiiiiiiiiiliiliiiiil.private_seg_size, 0
	.set _ZL18flash_attn_ext_vecILi64ELi1EL9ggml_type2ELS0_8ELb0EEvPKcS2_S2_S2_S2_PKiPfP15HIP_vector_typeIfLj2EEffffjfiS6_IjLj3EEiiiiiiiiiiiliiliiiiil.uses_vcc, 1
	.set _ZL18flash_attn_ext_vecILi64ELi1EL9ggml_type2ELS0_8ELb0EEvPKcS2_S2_S2_S2_PKiPfP15HIP_vector_typeIfLj2EEffffjfiS6_IjLj3EEiiiiiiiiiiiliiliiiiil.uses_flat_scratch, 0
	.set _ZL18flash_attn_ext_vecILi64ELi1EL9ggml_type2ELS0_8ELb0EEvPKcS2_S2_S2_S2_PKiPfP15HIP_vector_typeIfLj2EEffffjfiS6_IjLj3EEiiiiiiiiiiiliiliiiiil.has_dyn_sized_stack, 0
	.set _ZL18flash_attn_ext_vecILi64ELi1EL9ggml_type2ELS0_8ELb0EEvPKcS2_S2_S2_S2_PKiPfP15HIP_vector_typeIfLj2EEffffjfiS6_IjLj3EEiiiiiiiiiiiliiliiiiil.has_recursion, 0
	.set _ZL18flash_attn_ext_vecILi64ELi1EL9ggml_type2ELS0_8ELb0EEvPKcS2_S2_S2_S2_PKiPfP15HIP_vector_typeIfLj2EEffffjfiS6_IjLj3EEiiiiiiiiiiiliiliiiiil.has_indirect_call, 0
	.section	.AMDGPU.csdata,"",@progbits
; Kernel info:
; codeLenInByte = 10148
; TotalNumSgprs: 63
; NumVgprs: 134
; ScratchSize: 0
; MemoryBound: 0
; FloatMode: 240
; IeeeMode: 1
; LDSByteSize: 1280 bytes/workgroup (compile time only)
; SGPRBlocks: 7
; VGPRBlocks: 33
; NumSGPRsForWavesPerEU: 63
; NumVGPRsForWavesPerEU: 134
; Occupancy: 1
; WaveLimiterHint : 0
; COMPUTE_PGM_RSRC2:SCRATCH_EN: 0
; COMPUTE_PGM_RSRC2:USER_SGPR: 6
; COMPUTE_PGM_RSRC2:TRAP_HANDLER: 0
; COMPUTE_PGM_RSRC2:TGID_X_EN: 1
; COMPUTE_PGM_RSRC2:TGID_Y_EN: 1
; COMPUTE_PGM_RSRC2:TGID_Z_EN: 1
; COMPUTE_PGM_RSRC2:TIDIG_COMP_CNT: 1
	.section	.text._ZL25flash_attn_mask_to_KV_maxILi1EEvPK7__half2Piiii,"axG",@progbits,_ZL25flash_attn_mask_to_KV_maxILi1EEvPK7__half2Piiii,comdat
	.globl	_ZL25flash_attn_mask_to_KV_maxILi1EEvPK7__half2Piiii ; -- Begin function _ZL25flash_attn_mask_to_KV_maxILi1EEvPK7__half2Piiii
	.p2align	8
	.type	_ZL25flash_attn_mask_to_KV_maxILi1EEvPK7__half2Piiii,@function
_ZL25flash_attn_mask_to_KV_maxILi1EEvPK7__half2Piiii: ; @_ZL25flash_attn_mask_to_KV_maxILi1EEvPK7__half2Piiii
; %bb.0:
	s_load_dwordx4 s[8:11], s[4:5], 0x0
	v_cmp_gt_u32_e32 vcc, 32, v0
	s_and_saveexec_b64 s[0:1], vcc
; %bb.1:
	v_lshlrev_b32_e32 v1, 2, v0
	v_mov_b32_e32 v2, 1
	ds_write_b32 v1, v2
; %bb.2:
	s_or_b64 exec, exec, s[0:1]
	s_load_dwordx4 s[0:3], s[4:5], 0x10
	s_load_dword s12, s[4:5], 0x20
	v_and_b32_e32 v1, 31, v0
	v_lshlrev_b32_e32 v4, 2, v1
	v_lshrrev_b32_e32 v3, 3, v0
	s_waitcnt lgkmcnt(0)
	s_mul_i32 s2, s2, s7
	s_mul_i32 s1, s1, s6
	s_add_i32 s2, s2, s1
	s_ashr_i32 s3, s2, 31
	s_lshl_b64 s[2:3], s[2:3], 2
	s_add_u32 s13, s8, s2
	s_addc_u32 s14, s9, s3
	s_lshl_b32 s15, s0, 8
	v_cmp_eq_u32_e64 s[0:1], 0, v1
	v_mbcnt_lo_u32_b32 v1, -1, 0
	v_mbcnt_hi_u32_b32 v5, -1, v1
	v_and_b32_e32 v1, 0x60, v5
	s_mov_b64 s[4:5], 0
	v_mov_b32_e32 v2, 0
	s_movk_i32 s16, 0x204
	v_add_u32_e32 v6, 32, v1
	v_xor_b32_e32 v7, 16, v5
	v_xor_b32_e32 v8, 8, v5
	;; [unrolled: 1-line block ×5, first 2 shown]
	s_barrier
                                        ; implicit-def: $sgpr2_sgpr3
	s_branch .LBB1_5
.LBB1_3:                                ;   in Loop: Header=BB1_5 Depth=1
	s_or_b64 exec, exec, s[8:9]
	s_waitcnt lgkmcnt(0)
	s_barrier
	ds_read_b32 v16, v4
	s_waitcnt lgkmcnt(0)
	s_barrier
	ds_bpermute_b32 v1, v1, v16
	v_cmp_ne_u32_e32 vcc, 0, v16
	s_waitcnt lgkmcnt(0)
	v_cmp_ne_u32_e64 s[2:3], 0, v1
	s_and_b64 s[2:3], vcc, s[2:3]
	v_cndmask_b32_e64 v1, 0, 1, s[2:3]
	ds_bpermute_b32 v1, v12, v1
	s_waitcnt lgkmcnt(0)
	v_cmp_ne_u32_e32 vcc, 0, v1
	s_and_b64 s[2:3], vcc, s[2:3]
	v_cndmask_b32_e64 v1, 0, 1, s[2:3]
	ds_bpermute_b32 v1, v13, v1
	s_waitcnt lgkmcnt(0)
	v_cmp_ne_u32_e32 vcc, 0, v1
	;; [unrolled: 5-line block ×3, first 2 shown]
	s_and_b64 s[2:3], vcc, s[2:3]
	v_cndmask_b32_e64 v1, 0, 1, s[2:3]
	ds_bpermute_b32 v1, v15, v1
	s_xor_b64 s[2:3], s[2:3], -1
	s_waitcnt lgkmcnt(0)
	v_cmp_eq_u32_e32 vcc, 0, v1
	s_or_b64 s[2:3], vcc, s[2:3]
.LBB1_4:                                ;   in Loop: Header=BB1_5 Depth=1
	s_and_b64 s[8:9], exec, s[2:3]
	s_or_b64 s[4:5], s[8:9], s[4:5]
	v_mov_b32_e32 v1, s15
	s_mov_b32 s15, s17
	s_andn2_b64 exec, exec, s[4:5]
	s_cbranch_execz .LBB1_10
.LBB1_5:                                ; =>This Inner Loop Header: Depth=1
	s_add_i32 s17, s15, 0xffffff00
	s_or_b64 s[2:3], s[2:3], exec
	s_cmp_lt_i32 s17, 0
	s_cbranch_scc1 .LBB1_4
; %bb.6:                                ;   in Loop: Header=BB1_5 Depth=1
	s_lshr_b32 s2, s17, 1
	v_add_u32_e32 v1, s2, v0
	v_lshlrev_b64 v[12:13], 2, v[1:2]
	v_mov_b32_e32 v1, s14
	v_add_co_u32_e32 v12, vcc, s13, v12
	v_addc_co_u32_e32 v13, vcc, v1, v13, vcc
	global_load_dword v1, v[12:13], off
	v_mov_b32_e32 v12, 0
	s_waitcnt vmcnt(0)
	v_cmp_class_f16_e64 s[8:9], v1, s16
	s_and_saveexec_b64 s[2:3], s[8:9]
; %bb.7:                                ;   in Loop: Header=BB1_5 Depth=1
	v_cmp_class_f16_sdwa s[8:9], v1, s16 src0_sel:WORD_1 src1_sel:DWORD
	v_cndmask_b32_e64 v12, 0, 1, s[8:9]
; %bb.8:                                ;   in Loop: Header=BB1_5 Depth=1
	s_or_b64 exec, exec, s[2:3]
	v_cmp_lt_i32_e32 vcc, v7, v6
	v_cndmask_b32_e32 v1, v5, v7, vcc
	v_lshlrev_b32_e32 v1, 2, v1
	ds_bpermute_b32 v13, v1, v12
	v_cmp_ne_u32_e32 vcc, 0, v12
	s_waitcnt lgkmcnt(0)
	v_cmp_ne_u32_e64 s[2:3], 0, v13
	s_and_b64 s[2:3], vcc, s[2:3]
	v_cmp_lt_i32_e32 vcc, v8, v6
	v_cndmask_b32_e32 v12, v5, v8, vcc
	v_cndmask_b32_e64 v13, 0, 1, s[2:3]
	v_lshlrev_b32_e32 v12, 2, v12
	ds_bpermute_b32 v13, v12, v13
	s_waitcnt lgkmcnt(0)
	v_cmp_ne_u32_e32 vcc, 0, v13
	s_and_b64 s[2:3], vcc, s[2:3]
	v_cmp_lt_i32_e32 vcc, v9, v6
	v_cndmask_b32_e32 v13, v5, v9, vcc
	v_cndmask_b32_e64 v14, 0, 1, s[2:3]
	v_lshlrev_b32_e32 v13, 2, v13
	ds_bpermute_b32 v14, v13, v14
	s_waitcnt lgkmcnt(0)
	v_cmp_ne_u32_e32 vcc, 0, v14
	;; [unrolled: 8-line block ×3, first 2 shown]
	s_and_b64 s[2:3], vcc, s[2:3]
	v_cmp_lt_i32_e32 vcc, v11, v6
	v_cndmask_b32_e32 v15, v5, v11, vcc
	v_cndmask_b32_e64 v16, 0, 1, s[2:3]
	v_lshlrev_b32_e32 v15, 2, v15
	ds_bpermute_b32 v16, v15, v16
	s_and_saveexec_b64 s[8:9], s[0:1]
	s_cbranch_execz .LBB1_3
; %bb.9:                                ;   in Loop: Header=BB1_5 Depth=1
	s_waitcnt lgkmcnt(0)
	v_cmp_ne_u32_e32 vcc, 0, v16
	s_and_b64 s[2:3], vcc, s[2:3]
	v_cndmask_b32_e64 v16, 0, 1, s[2:3]
	ds_write_b32 v3, v16
	s_branch .LBB1_3
.LBB1_10:
	s_or_b64 exec, exec, s[4:5]
	v_cmp_eq_u32_e32 vcc, 0, v0
	s_and_saveexec_b64 s[0:1], vcc
	s_cbranch_execz .LBB1_12
; %bb.11:
	s_mul_i32 s0, s12, s7
	s_add_i32 s0, s0, s6
	s_ashr_i32 s1, s0, 31
	s_lshl_b64 s[0:1], s[0:1], 2
	s_add_u32 s0, s10, s0
	s_addc_u32 s1, s11, s1
	v_mov_b32_e32 v0, 0
	global_store_dword v0, v1, s[0:1]
.LBB1_12:
	s_endpgm
	.section	.rodata,"a",@progbits
	.p2align	6, 0x0
	.amdhsa_kernel _ZL25flash_attn_mask_to_KV_maxILi1EEvPK7__half2Piiii
		.amdhsa_group_segment_fixed_size 128
		.amdhsa_private_segment_fixed_size 0
		.amdhsa_kernarg_size 288
		.amdhsa_user_sgpr_count 6
		.amdhsa_user_sgpr_private_segment_buffer 1
		.amdhsa_user_sgpr_dispatch_ptr 0
		.amdhsa_user_sgpr_queue_ptr 0
		.amdhsa_user_sgpr_kernarg_segment_ptr 1
		.amdhsa_user_sgpr_dispatch_id 0
		.amdhsa_user_sgpr_flat_scratch_init 0
		.amdhsa_user_sgpr_private_segment_size 0
		.amdhsa_uses_dynamic_stack 0
		.amdhsa_system_sgpr_private_segment_wavefront_offset 0
		.amdhsa_system_sgpr_workgroup_id_x 1
		.amdhsa_system_sgpr_workgroup_id_y 1
		.amdhsa_system_sgpr_workgroup_id_z 0
		.amdhsa_system_sgpr_workgroup_info 0
		.amdhsa_system_vgpr_workitem_id 0
		.amdhsa_next_free_vgpr 17
		.amdhsa_next_free_sgpr 18
		.amdhsa_reserve_vcc 1
		.amdhsa_reserve_flat_scratch 0
		.amdhsa_float_round_mode_32 0
		.amdhsa_float_round_mode_16_64 0
		.amdhsa_float_denorm_mode_32 3
		.amdhsa_float_denorm_mode_16_64 3
		.amdhsa_dx10_clamp 1
		.amdhsa_ieee_mode 1
		.amdhsa_fp16_overflow 0
		.amdhsa_exception_fp_ieee_invalid_op 0
		.amdhsa_exception_fp_denorm_src 0
		.amdhsa_exception_fp_ieee_div_zero 0
		.amdhsa_exception_fp_ieee_overflow 0
		.amdhsa_exception_fp_ieee_underflow 0
		.amdhsa_exception_fp_ieee_inexact 0
		.amdhsa_exception_int_div_zero 0
	.end_amdhsa_kernel
	.section	.text._ZL25flash_attn_mask_to_KV_maxILi1EEvPK7__half2Piiii,"axG",@progbits,_ZL25flash_attn_mask_to_KV_maxILi1EEvPK7__half2Piiii,comdat
.Lfunc_end1:
	.size	_ZL25flash_attn_mask_to_KV_maxILi1EEvPK7__half2Piiii, .Lfunc_end1-_ZL25flash_attn_mask_to_KV_maxILi1EEvPK7__half2Piiii
                                        ; -- End function
	.set _ZL25flash_attn_mask_to_KV_maxILi1EEvPK7__half2Piiii.num_vgpr, 17
	.set _ZL25flash_attn_mask_to_KV_maxILi1EEvPK7__half2Piiii.num_agpr, 0
	.set _ZL25flash_attn_mask_to_KV_maxILi1EEvPK7__half2Piiii.numbered_sgpr, 18
	.set _ZL25flash_attn_mask_to_KV_maxILi1EEvPK7__half2Piiii.num_named_barrier, 0
	.set _ZL25flash_attn_mask_to_KV_maxILi1EEvPK7__half2Piiii.private_seg_size, 0
	.set _ZL25flash_attn_mask_to_KV_maxILi1EEvPK7__half2Piiii.uses_vcc, 1
	.set _ZL25flash_attn_mask_to_KV_maxILi1EEvPK7__half2Piiii.uses_flat_scratch, 0
	.set _ZL25flash_attn_mask_to_KV_maxILi1EEvPK7__half2Piiii.has_dyn_sized_stack, 0
	.set _ZL25flash_attn_mask_to_KV_maxILi1EEvPK7__half2Piiii.has_recursion, 0
	.set _ZL25flash_attn_mask_to_KV_maxILi1EEvPK7__half2Piiii.has_indirect_call, 0
	.section	.AMDGPU.csdata,"",@progbits
; Kernel info:
; codeLenInByte = 752
; TotalNumSgprs: 22
; NumVgprs: 17
; ScratchSize: 0
; MemoryBound: 0
; FloatMode: 240
; IeeeMode: 1
; LDSByteSize: 128 bytes/workgroup (compile time only)
; SGPRBlocks: 2
; VGPRBlocks: 4
; NumSGPRsForWavesPerEU: 22
; NumVGPRsForWavesPerEU: 17
; Occupancy: 10
; WaveLimiterHint : 0
; COMPUTE_PGM_RSRC2:SCRATCH_EN: 0
; COMPUTE_PGM_RSRC2:USER_SGPR: 6
; COMPUTE_PGM_RSRC2:TRAP_HANDLER: 0
; COMPUTE_PGM_RSRC2:TGID_X_EN: 1
; COMPUTE_PGM_RSRC2:TGID_Y_EN: 1
; COMPUTE_PGM_RSRC2:TGID_Z_EN: 0
; COMPUTE_PGM_RSRC2:TIDIG_COMP_CNT: 0
	.section	.text._ZL33flash_attn_stream_k_fixup_uniformILi64ELi1ELi1EEvPfPK15HIP_vector_typeIfLj2EEiiiiiiS1_IjLj3EES5_S5_,"axG",@progbits,_ZL33flash_attn_stream_k_fixup_uniformILi64ELi1ELi1EEvPfPK15HIP_vector_typeIfLj2EEiiiiiiS1_IjLj3EES5_S5_,comdat
	.globl	_ZL33flash_attn_stream_k_fixup_uniformILi64ELi1ELi1EEvPfPK15HIP_vector_typeIfLj2EEiiiiiiS1_IjLj3EES5_S5_ ; -- Begin function _ZL33flash_attn_stream_k_fixup_uniformILi64ELi1ELi1EEvPfPK15HIP_vector_typeIfLj2EEiiiiiiS1_IjLj3EES5_S5_
	.p2align	8
	.type	_ZL33flash_attn_stream_k_fixup_uniformILi64ELi1ELi1EEvPfPK15HIP_vector_typeIfLj2EEiiiiiiS1_IjLj3EES5_S5_,@function
_ZL33flash_attn_stream_k_fixup_uniformILi64ELi1ELi1EEvPfPK15HIP_vector_typeIfLj2EEiiiiiiS1_IjLj3EES5_S5_: ; @_ZL33flash_attn_stream_k_fixup_uniformILi64ELi1ELi1EEvPfPK15HIP_vector_typeIfLj2EEiiiiiiS1_IjLj3EES5_S5_
; %bb.0:
	s_load_dwordx8 s[12:19], s[4:5], 0x1c
	s_load_dwordx2 s[10:11], s[4:5], 0x10
	s_load_dwordx4 s[0:3], s[4:5], 0x3c
	s_waitcnt lgkmcnt(0)
	s_mul_hi_u32 s9, s15, s6
	s_add_i32 s9, s6, s9
	s_lshr_b32 s9, s9, s16
	s_mul_i32 s15, s9, s17
	s_sub_i32 s16, s6, s15
	s_mul_hi_u32 s15, s16, s18
	s_add_i32 s15, s16, s15
	s_lshr_b32 s15, s15, s19
	s_mul_i32 s0, s15, s0
	s_sub_i32 s0, s16, s0
	;; [unrolled: 5-line block ×3, first 2 shown]
	s_add_i32 s16, s16, s7
	s_cmp_lt_i32 s16, s10
	s_cselect_b64 s[0:1], -1, 0
	s_add_i32 s17, s17, s8
	s_cmp_lt_i32 s17, s13
	s_cselect_b64 s[2:3], -1, 0
	s_and_b64 s[0:1], s[0:1], s[2:3]
	s_andn2_b64 vcc, exec, s[0:1]
	s_cbranch_vccnz .LBB2_6
; %bb.1:
	s_mul_i32 s9, s9, s10
	s_load_dwordx4 s[0:3], s[4:5], 0x0
	s_mul_i32 s15, s15, s13
	s_add_i32 s4, s16, s9
	s_mul_i32 s4, s4, s11
	s_add_i32 s5, s17, s15
	s_add_i32 s5, s5, s4
	v_lshl_or_b32 v1, s5, 6, v0
	v_ashrrev_i32_e32 v2, 31, v1
	v_lshlrev_b64 v[1:2], 2, v[1:2]
	s_waitcnt lgkmcnt(0)
	v_mov_b32_e32 v3, s1
	v_add_co_u32_e32 v1, vcc, s0, v1
	v_addc_co_u32_e32 v2, vcc, v3, v2, vcc
	global_load_dword v8, v[1:2], off
	s_mul_i32 s4, s14, s6
	s_add_i32 s7, s7, s8
	s_add_i32 s6, s4, s14
	;; [unrolled: 1-line block ×3, first 2 shown]
	s_add_i32 s0, s8, -1
	s_ashr_i32 s1, s0, 31
	s_lshl_b64 s[0:1], s[0:1], 3
	s_add_u32 s0, s2, s0
	s_addc_u32 s1, s3, s1
	s_load_dword s9, s[0:1], 0x4
	s_add_i32 s5, s6, -2
	s_cmp_lt_i32 s5, s4
	s_cbranch_scc1 .LBB2_4
; %bb.2:
	s_lshl_b32 s10, s12, 2
	s_load_dword s0, s[0:1], 0x0
	s_ashr_i32 s11, s10, 31
	s_lshl_b64 s[10:11], s[10:11], 2
	s_add_u32 s5, s2, s10
	s_addc_u32 s10, s3, s11
	v_lshl_or_b32 v0, s8, 6, v0
	s_add_i32 s6, s6, -1
	s_add_i32 s7, s7, s12
	v_add_u32_e32 v3, 0xffffff80, v0
	s_waitcnt lgkmcnt(0)
	v_mov_b32_e32 v7, s9
	v_mov_b32_e32 v6, s0
	;; [unrolled: 1-line block ×3, first 2 shown]
	s_mov_b32 s8, 0x3fb8aa3b
	s_mov_b32 s9, 0xc2ce8ed0
	;; [unrolled: 1-line block ×3, first 2 shown]
	v_mov_b32_e32 v5, 0x7f800000
	s_mov_b32 s11, 0xc1a00000
.LBB2_3:                                ; =>This Inner Loop Header: Depth=1
	v_ashrrev_i32_e32 v4, 31, v3
	v_lshlrev_b64 v[9:10], 2, v[3:4]
	s_add_i32 s6, s6, -1
	v_add_co_u32_e32 v9, vcc, s5, v9
	v_addc_co_u32_e32 v10, vcc, v0, v10, vcc
	global_load_dword v4, v[9:10], off
	s_add_i32 s0, s6, s7
	s_ashr_i32 s1, s0, 31
	s_lshl_b64 s[0:1], s[0:1], 3
	s_add_u32 s0, s2, s0
	s_addc_u32 s1, s3, s1
	s_load_dwordx2 s[12:13], s[0:1], 0x0
	s_waitcnt vmcnt(1)
	v_mov_b32_e32 v9, v8
	v_max_f32_e32 v8, v6, v6
	v_mov_b32_e32 v10, v7
	v_subrev_u32_e32 v3, 64, v3
	s_waitcnt lgkmcnt(0)
	v_max_f32_e64 v7, s12, s12
	v_max_f32_e32 v7, v8, v7
	v_sub_f32_e32 v11, s12, v7
	v_sub_f32_e32 v8, v6, v7
	v_mul_f32_e32 v12, 0x3fb8aa3b, v11
	v_mov_b32_e32 v6, v7
	v_mul_f32_e32 v7, 0x3fb8aa3b, v8
	v_fma_f32 v15, v11, s8, -v12
	v_rndne_f32_e32 v16, v12
	v_fma_f32 v13, v8, s8, -v7
	v_rndne_f32_e32 v14, v7
	v_fmac_f32_e32 v15, 0x32a5705f, v11
	v_sub_f32_e32 v12, v12, v16
	v_fmac_f32_e32 v13, 0x32a5705f, v8
	v_sub_f32_e32 v7, v7, v14
	v_add_f32_e32 v12, v12, v15
	v_cvt_i32_f32_e32 v16, v16
	v_add_f32_e32 v7, v7, v13
	v_exp_f32_e32 v12, v12
	v_cvt_i32_f32_e32 v14, v14
	v_exp_f32_e32 v7, v7
	v_cmp_ngt_f32_e32 vcc, s9, v11
	v_ldexp_f32 v12, v12, v16
	v_cmp_ngt_f32_e64 s[0:1], s9, v8
	v_ldexp_f32 v7, v7, v14
	v_cndmask_b32_e32 v12, 0, v12, vcc
	v_cmp_nlt_f32_e32 vcc, s10, v11
	v_cndmask_b32_e64 v7, 0, v7, s[0:1]
	v_cmp_nlt_f32_e64 s[0:1], s10, v8
	v_cndmask_b32_e32 v12, v5, v12, vcc
	v_cmp_le_f32_e32 vcc, s11, v11
	v_cndmask_b32_e64 v7, v5, v7, s[0:1]
	v_cmp_le_f32_e64 s[0:1], s11, v8
	v_cndmask_b32_e32 v8, 0, v12, vcc
	v_cndmask_b32_e64 v11, 0, v7, s[0:1]
	v_mul_f32_e32 v7, s13, v8
	s_cmp_le_i32 s6, s4
	v_fmac_f32_e32 v7, v10, v11
	s_waitcnt vmcnt(0)
	v_mul_f32_e32 v8, v4, v8
	v_fmac_f32_e32 v8, v9, v11
	s_cbranch_scc0 .LBB2_3
	s_branch .LBB2_5
.LBB2_4:
	s_waitcnt lgkmcnt(0)
	v_mov_b32_e32 v7, s9
.LBB2_5:
	s_waitcnt vmcnt(0)
	v_div_scale_f32 v0, s[0:1], v7, v7, v8
	v_div_scale_f32 v3, vcc, v8, v7, v8
	v_rcp_f32_e32 v4, v0
	v_fma_f32 v5, -v0, v4, 1.0
	v_fmac_f32_e32 v4, v5, v4
	v_mul_f32_e32 v5, v3, v4
	v_fma_f32 v6, -v0, v5, v3
	v_fmac_f32_e32 v5, v6, v4
	v_fma_f32 v0, -v0, v5, v3
	v_div_fmas_f32 v0, v0, v4, v5
	v_div_fixup_f32 v0, v0, v7, v8
	global_store_dword v[1:2], v0, off
.LBB2_6:
	s_endpgm
	.section	.rodata,"a",@progbits
	.p2align	6, 0x0
	.amdhsa_kernel _ZL33flash_attn_stream_k_fixup_uniformILi64ELi1ELi1EEvPfPK15HIP_vector_typeIfLj2EEiiiiiiS1_IjLj3EES5_S5_
		.amdhsa_group_segment_fixed_size 0
		.amdhsa_private_segment_fixed_size 0
		.amdhsa_kernarg_size 76
		.amdhsa_user_sgpr_count 6
		.amdhsa_user_sgpr_private_segment_buffer 1
		.amdhsa_user_sgpr_dispatch_ptr 0
		.amdhsa_user_sgpr_queue_ptr 0
		.amdhsa_user_sgpr_kernarg_segment_ptr 1
		.amdhsa_user_sgpr_dispatch_id 0
		.amdhsa_user_sgpr_flat_scratch_init 0
		.amdhsa_user_sgpr_private_segment_size 0
		.amdhsa_uses_dynamic_stack 0
		.amdhsa_system_sgpr_private_segment_wavefront_offset 0
		.amdhsa_system_sgpr_workgroup_id_x 1
		.amdhsa_system_sgpr_workgroup_id_y 1
		.amdhsa_system_sgpr_workgroup_id_z 1
		.amdhsa_system_sgpr_workgroup_info 0
		.amdhsa_system_vgpr_workitem_id 0
		.amdhsa_next_free_vgpr 17
		.amdhsa_next_free_sgpr 20
		.amdhsa_reserve_vcc 1
		.amdhsa_reserve_flat_scratch 0
		.amdhsa_float_round_mode_32 0
		.amdhsa_float_round_mode_16_64 0
		.amdhsa_float_denorm_mode_32 3
		.amdhsa_float_denorm_mode_16_64 3
		.amdhsa_dx10_clamp 1
		.amdhsa_ieee_mode 1
		.amdhsa_fp16_overflow 0
		.amdhsa_exception_fp_ieee_invalid_op 0
		.amdhsa_exception_fp_denorm_src 0
		.amdhsa_exception_fp_ieee_div_zero 0
		.amdhsa_exception_fp_ieee_overflow 0
		.amdhsa_exception_fp_ieee_underflow 0
		.amdhsa_exception_fp_ieee_inexact 0
		.amdhsa_exception_int_div_zero 0
	.end_amdhsa_kernel
	.section	.text._ZL33flash_attn_stream_k_fixup_uniformILi64ELi1ELi1EEvPfPK15HIP_vector_typeIfLj2EEiiiiiiS1_IjLj3EES5_S5_,"axG",@progbits,_ZL33flash_attn_stream_k_fixup_uniformILi64ELi1ELi1EEvPfPK15HIP_vector_typeIfLj2EEiiiiiiS1_IjLj3EES5_S5_,comdat
.Lfunc_end2:
	.size	_ZL33flash_attn_stream_k_fixup_uniformILi64ELi1ELi1EEvPfPK15HIP_vector_typeIfLj2EEiiiiiiS1_IjLj3EES5_S5_, .Lfunc_end2-_ZL33flash_attn_stream_k_fixup_uniformILi64ELi1ELi1EEvPfPK15HIP_vector_typeIfLj2EEiiiiiiS1_IjLj3EES5_S5_
                                        ; -- End function
	.set _ZL33flash_attn_stream_k_fixup_uniformILi64ELi1ELi1EEvPfPK15HIP_vector_typeIfLj2EEiiiiiiS1_IjLj3EES5_S5_.num_vgpr, 17
	.set _ZL33flash_attn_stream_k_fixup_uniformILi64ELi1ELi1EEvPfPK15HIP_vector_typeIfLj2EEiiiiiiS1_IjLj3EES5_S5_.num_agpr, 0
	.set _ZL33flash_attn_stream_k_fixup_uniformILi64ELi1ELi1EEvPfPK15HIP_vector_typeIfLj2EEiiiiiiS1_IjLj3EES5_S5_.numbered_sgpr, 20
	.set _ZL33flash_attn_stream_k_fixup_uniformILi64ELi1ELi1EEvPfPK15HIP_vector_typeIfLj2EEiiiiiiS1_IjLj3EES5_S5_.num_named_barrier, 0
	.set _ZL33flash_attn_stream_k_fixup_uniformILi64ELi1ELi1EEvPfPK15HIP_vector_typeIfLj2EEiiiiiiS1_IjLj3EES5_S5_.private_seg_size, 0
	.set _ZL33flash_attn_stream_k_fixup_uniformILi64ELi1ELi1EEvPfPK15HIP_vector_typeIfLj2EEiiiiiiS1_IjLj3EES5_S5_.uses_vcc, 1
	.set _ZL33flash_attn_stream_k_fixup_uniformILi64ELi1ELi1EEvPfPK15HIP_vector_typeIfLj2EEiiiiiiS1_IjLj3EES5_S5_.uses_flat_scratch, 0
	.set _ZL33flash_attn_stream_k_fixup_uniformILi64ELi1ELi1EEvPfPK15HIP_vector_typeIfLj2EEiiiiiiS1_IjLj3EES5_S5_.has_dyn_sized_stack, 0
	.set _ZL33flash_attn_stream_k_fixup_uniformILi64ELi1ELi1EEvPfPK15HIP_vector_typeIfLj2EEiiiiiiS1_IjLj3EES5_S5_.has_recursion, 0
	.set _ZL33flash_attn_stream_k_fixup_uniformILi64ELi1ELi1EEvPfPK15HIP_vector_typeIfLj2EEiiiiiiS1_IjLj3EES5_S5_.has_indirect_call, 0
	.section	.AMDGPU.csdata,"",@progbits
; Kernel info:
; codeLenInByte = 776
; TotalNumSgprs: 24
; NumVgprs: 17
; ScratchSize: 0
; MemoryBound: 0
; FloatMode: 240
; IeeeMode: 1
; LDSByteSize: 0 bytes/workgroup (compile time only)
; SGPRBlocks: 2
; VGPRBlocks: 4
; NumSGPRsForWavesPerEU: 24
; NumVGPRsForWavesPerEU: 17
; Occupancy: 10
; WaveLimiterHint : 0
; COMPUTE_PGM_RSRC2:SCRATCH_EN: 0
; COMPUTE_PGM_RSRC2:USER_SGPR: 6
; COMPUTE_PGM_RSRC2:TRAP_HANDLER: 0
; COMPUTE_PGM_RSRC2:TGID_X_EN: 1
; COMPUTE_PGM_RSRC2:TGID_Y_EN: 1
; COMPUTE_PGM_RSRC2:TGID_Z_EN: 1
; COMPUTE_PGM_RSRC2:TIDIG_COMP_CNT: 0
	.section	.text._ZL33flash_attn_stream_k_fixup_generalILi64ELi1ELi1EEvPfPK15HIP_vector_typeIfLj2EEiiiiS1_IjLj3EES5_S5_S5_,"axG",@progbits,_ZL33flash_attn_stream_k_fixup_generalILi64ELi1ELi1EEvPfPK15HIP_vector_typeIfLj2EEiiiiS1_IjLj3EES5_S5_S5_,comdat
	.globl	_ZL33flash_attn_stream_k_fixup_generalILi64ELi1ELi1EEvPfPK15HIP_vector_typeIfLj2EEiiiiS1_IjLj3EES5_S5_S5_ ; -- Begin function _ZL33flash_attn_stream_k_fixup_generalILi64ELi1ELi1EEvPfPK15HIP_vector_typeIfLj2EEiiiiS1_IjLj3EES5_S5_S5_
	.p2align	8
	.type	_ZL33flash_attn_stream_k_fixup_generalILi64ELi1ELi1EEvPfPK15HIP_vector_typeIfLj2EEiiiiS1_IjLj3EES5_S5_S5_,@function
_ZL33flash_attn_stream_k_fixup_generalILi64ELi1ELi1EEvPfPK15HIP_vector_typeIfLj2EEiiiiS1_IjLj3EES5_S5_S5_: ; @_ZL33flash_attn_stream_k_fixup_generalILi64ELi1ELi1EEvPfPK15HIP_vector_typeIfLj2EEiiiiS1_IjLj3EES5_S5_S5_
; %bb.0:
	s_load_dwordx4 s[0:3], s[4:5], 0x10
	s_load_dword s22, s[4:5], 0x50
	s_mov_b32 s12, 0
	s_waitcnt lgkmcnt(0)
	s_mul_hi_i32 s13, s3, s6
	s_cmp_lg_u64 s[12:13], 0
	s_mul_i32 s9, s3, s6
	s_cbranch_scc0 .LBB3_20
; %bb.1:
	s_add_u32 s10, s22, 0
	s_addc_u32 s11, 0, 0
	s_xor_b64 s[10:11], s[10:11], 0
	v_cvt_f32_u32_e32 v1, s10
	v_cvt_f32_u32_e32 v2, s11
	s_sub_u32 s12, 0, s10
	s_subb_u32 s18, 0, s11
	v_madmk_f32 v1, v2, 0x4f800000, v1
	v_rcp_f32_e32 v1, v1
	v_mul_f32_e32 v1, 0x5f7ffffc, v1
	v_mul_f32_e32 v2, 0x2f800000, v1
	v_trunc_f32_e32 v2, v2
	v_madmk_f32 v1, v2, 0xcf800000, v1
	v_cvt_u32_f32_e32 v2, v2
	v_cvt_u32_f32_e32 v1, v1
	v_readfirstlane_b32 s19, v2
	v_readfirstlane_b32 s14, v1
	s_mul_i32 s15, s12, s19
	s_mul_hi_u32 s21, s12, s14
	s_mul_i32 s20, s18, s14
	s_add_i32 s15, s21, s15
	s_add_i32 s15, s15, s20
	s_mul_i32 s23, s12, s14
	s_mul_i32 s21, s14, s15
	s_mul_hi_u32 s24, s14, s23
	s_mul_hi_u32 s20, s14, s15
	s_add_u32 s21, s24, s21
	s_addc_u32 s20, 0, s20
	s_mul_hi_u32 s25, s19, s23
	s_mul_i32 s23, s19, s23
	s_add_u32 s21, s21, s23
	s_mul_hi_u32 s24, s19, s15
	s_addc_u32 s20, s20, s25
	s_addc_u32 s21, s24, 0
	s_mul_i32 s15, s19, s15
	s_add_u32 s15, s20, s15
	s_addc_u32 s20, 0, s21
	s_add_u32 s21, s14, s15
	s_cselect_b64 s[14:15], -1, 0
	s_cmp_lg_u64 s[14:15], 0
	s_addc_u32 s19, s19, s20
	s_mul_i32 s14, s12, s19
	s_mul_hi_u32 s15, s12, s21
	s_add_i32 s14, s15, s14
	s_mul_i32 s18, s18, s21
	s_add_i32 s14, s14, s18
	s_mul_i32 s12, s12, s21
	s_mul_hi_u32 s18, s19, s12
	s_mul_i32 s20, s19, s12
	s_mul_i32 s24, s21, s14
	s_mul_hi_u32 s12, s21, s12
	s_mul_hi_u32 s23, s21, s14
	s_add_u32 s12, s12, s24
	s_addc_u32 s23, 0, s23
	s_add_u32 s12, s12, s20
	s_mul_hi_u32 s15, s19, s14
	s_addc_u32 s12, s23, s18
	s_addc_u32 s15, s15, 0
	s_mul_i32 s14, s19, s14
	s_add_u32 s12, s12, s14
	s_addc_u32 s18, 0, s15
	s_add_u32 s20, s21, s12
	s_cselect_b64 s[14:15], -1, 0
	s_cmp_lg_u64 s[14:15], 0
	s_addc_u32 s18, s19, s18
	s_ashr_i32 s14, s13, 31
	s_add_u32 s12, s9, s14
	s_mov_b32 s15, s14
	s_addc_u32 s13, s13, s14
	s_xor_b64 s[12:13], s[12:13], s[14:15]
	s_mul_i32 s21, s12, s18
	s_mul_hi_u32 s23, s12, s20
	s_mul_hi_u32 s19, s12, s18
	s_add_u32 s21, s23, s21
	s_addc_u32 s19, 0, s19
	s_mul_hi_u32 s24, s13, s20
	s_mul_i32 s20, s13, s20
	s_add_u32 s20, s21, s20
	s_mul_hi_u32 s23, s13, s18
	s_addc_u32 s19, s19, s24
	s_addc_u32 s20, s23, 0
	s_mul_i32 s18, s13, s18
	s_add_u32 s23, s19, s18
	s_addc_u32 s24, 0, s20
	s_mul_i32 s18, s10, s24
	s_mul_hi_u32 s19, s10, s23
	s_add_i32 s18, s19, s18
	s_mul_i32 s19, s11, s23
	s_add_i32 s25, s18, s19
	s_sub_i32 s20, s13, s25
	s_mul_i32 s18, s10, s23
	s_sub_u32 s12, s12, s18
	s_cselect_b64 s[18:19], -1, 0
	s_cmp_lg_u64 s[18:19], 0
	s_subb_u32 s26, s20, s11
	s_sub_u32 s27, s12, s10
	s_cselect_b64 s[20:21], -1, 0
	s_cmp_lg_u64 s[20:21], 0
	s_subb_u32 s20, s26, 0
	s_cmp_ge_u32 s20, s11
	s_cselect_b32 s21, -1, 0
	s_cmp_ge_u32 s27, s10
	s_cselect_b32 s26, -1, 0
	s_cmp_eq_u32 s20, s11
	s_cselect_b32 s20, s26, s21
	s_add_u32 s21, s23, 1
	s_addc_u32 s26, s24, 0
	s_add_u32 s27, s23, 2
	s_addc_u32 s28, s24, 0
	s_cmp_lg_u32 s20, 0
	s_cselect_b32 s20, s27, s21
	s_cselect_b32 s21, s28, s26
	s_cmp_lg_u64 s[18:19], 0
	s_subb_u32 s13, s13, s25
	s_cmp_ge_u32 s13, s11
	s_cselect_b32 s18, -1, 0
	s_cmp_ge_u32 s12, s10
	s_cselect_b32 s10, -1, 0
	s_cmp_eq_u32 s13, s11
	s_cselect_b32 s10, s10, s18
	s_cmp_lg_u32 s10, 0
	s_cselect_b32 s11, s21, s24
	s_cselect_b32 s10, s20, s23
	s_xor_b64 s[12:13], s[14:15], 0
	s_xor_b64 s[10:11], s[10:11], s[12:13]
	s_sub_u32 s10, s10, s12
	s_load_dwordx4 s[12:15], s[4:5], 0x44
	s_cbranch_execnz .LBB3_3
.LBB3_2:
	v_cvt_f32_u32_e32 v1, s22
	s_sub_i32 s10, 0, s22
	v_rcp_iflag_f32_e32 v1, v1
	v_mul_f32_e32 v1, 0x4f7ffffe, v1
	v_cvt_u32_f32_e32 v1, v1
	v_readfirstlane_b32 s11, v1
	s_mul_i32 s10, s10, s11
	s_mul_hi_u32 s10, s11, s10
	s_add_i32 s11, s11, s10
	s_mul_hi_u32 s10, s9, s11
	s_waitcnt lgkmcnt(0)
	s_mul_i32 s15, s10, s22
	s_sub_i32 s9, s9, s15
	s_add_i32 s11, s10, 1
	s_sub_i32 s15, s9, s22
	s_cmp_ge_u32 s9, s22
	s_cselect_b32 s10, s11, s10
	s_cselect_b32 s9, s15, s9
	s_add_i32 s11, s10, 1
	s_cmp_ge_u32 s9, s22
	s_cselect_b32 s10, s11, s10
.LBB3_3:
	s_add_i32 s9, s6, 1
	s_mul_hi_i32 s21, s3, s9
	s_mov_b32 s20, 0
	s_cmp_lg_u64 s[20:21], 0
	s_mul_i32 s9, s3, s9
	s_cbranch_scc0 .LBB3_21
; %bb.4:
	s_add_u32 s16, s22, 0
	s_addc_u32 s17, 0, 0
	s_xor_b64 s[18:19], s[16:17], 0
	v_cvt_f32_u32_e32 v1, s18
	v_cvt_f32_u32_e32 v2, s19
	s_sub_u32 s11, 0, s18
	s_waitcnt lgkmcnt(0)
	s_subb_u32 s15, 0, s19
	v_madmk_f32 v1, v2, 0x4f800000, v1
	v_rcp_f32_e32 v1, v1
	v_mul_f32_e32 v1, 0x5f7ffffc, v1
	v_mul_f32_e32 v2, 0x2f800000, v1
	v_trunc_f32_e32 v2, v2
	v_madmk_f32 v1, v2, 0xcf800000, v1
	v_cvt_u32_f32_e32 v2, v2
	v_cvt_u32_f32_e32 v1, v1
	v_readfirstlane_b32 s20, v2
	v_readfirstlane_b32 s23, v1
	s_mul_i32 s24, s11, s20
	s_mul_hi_u32 s26, s11, s23
	s_mul_i32 s25, s15, s23
	s_add_i32 s24, s26, s24
	s_add_i32 s24, s24, s25
	s_mul_i32 s27, s11, s23
	s_mul_i32 s26, s23, s24
	s_mul_hi_u32 s28, s23, s27
	s_mul_hi_u32 s25, s23, s24
	s_add_u32 s26, s28, s26
	s_addc_u32 s25, 0, s25
	s_mul_hi_u32 s29, s20, s27
	s_mul_i32 s27, s20, s27
	s_add_u32 s26, s26, s27
	s_mul_hi_u32 s28, s20, s24
	s_addc_u32 s25, s25, s29
	s_addc_u32 s26, s28, 0
	s_mul_i32 s24, s20, s24
	s_add_u32 s24, s25, s24
	s_addc_u32 s26, 0, s26
	s_add_u32 s23, s23, s24
	s_cselect_b64 s[24:25], -1, 0
	s_cmp_lg_u64 s[24:25], 0
	s_addc_u32 s20, s20, s26
	s_mul_i32 s24, s11, s20
	s_mul_hi_u32 s25, s11, s23
	s_add_i32 s24, s25, s24
	s_mul_i32 s15, s15, s23
	s_add_i32 s24, s24, s15
	s_mul_i32 s11, s11, s23
	s_mul_hi_u32 s25, s20, s11
	s_mul_i32 s26, s20, s11
	s_mul_i32 s28, s23, s24
	s_mul_hi_u32 s11, s23, s11
	s_mul_hi_u32 s27, s23, s24
	s_add_u32 s11, s11, s28
	s_addc_u32 s27, 0, s27
	s_add_u32 s11, s11, s26
	s_mul_hi_u32 s15, s20, s24
	s_addc_u32 s11, s27, s25
	s_addc_u32 s15, s15, 0
	s_mul_i32 s24, s20, s24
	s_add_u32 s11, s11, s24
	s_addc_u32 s15, 0, s15
	s_add_u32 s11, s23, s11
	s_cselect_b64 s[24:25], -1, 0
	s_cmp_lg_u64 s[24:25], 0
	s_addc_u32 s15, s20, s15
	s_ashr_i32 s24, s21, 31
	s_add_u32 s20, s9, s24
	s_mov_b32 s25, s24
	s_addc_u32 s21, s21, s24
	s_xor_b64 s[20:21], s[20:21], s[24:25]
	s_mul_i32 s26, s20, s15
	s_mul_hi_u32 s27, s20, s11
	s_mul_hi_u32 s23, s20, s15
	s_add_u32 s26, s27, s26
	s_addc_u32 s23, 0, s23
	s_mul_hi_u32 s28, s21, s11
	s_mul_i32 s11, s21, s11
	s_add_u32 s11, s26, s11
	s_mul_hi_u32 s27, s21, s15
	s_addc_u32 s11, s23, s28
	s_addc_u32 s23, s27, 0
	s_mul_i32 s15, s21, s15
	s_add_u32 s11, s11, s15
	s_addc_u32 s15, 0, s23
	s_mul_i32 s23, s18, s15
	s_mul_hi_u32 s26, s18, s11
	s_add_i32 s23, s26, s23
	s_mul_i32 s26, s19, s11
	s_add_i32 s23, s23, s26
	s_sub_i32 s28, s21, s23
	s_mul_i32 s26, s18, s11
	s_sub_u32 s20, s20, s26
	s_cselect_b64 s[26:27], -1, 0
	s_cmp_lg_u64 s[26:27], 0
	s_subb_u32 s30, s28, s19
	s_sub_u32 s31, s20, s18
	s_cselect_b64 s[28:29], -1, 0
	s_cmp_lg_u64 s[28:29], 0
	s_subb_u32 s28, s30, 0
	s_cmp_ge_u32 s28, s19
	s_cselect_b32 s29, -1, 0
	s_cmp_ge_u32 s31, s18
	s_cselect_b32 s30, -1, 0
	s_cmp_eq_u32 s28, s19
	s_cselect_b32 s28, s30, s29
	s_add_u32 s29, s11, 1
	s_addc_u32 s30, s15, 0
	s_add_u32 s31, s11, 2
	s_addc_u32 s33, s15, 0
	s_cmp_lg_u32 s28, 0
	s_cselect_b32 s28, s31, s29
	s_cselect_b32 s29, s33, s30
	s_cmp_lg_u64 s[26:27], 0
	s_subb_u32 s21, s21, s23
	s_cmp_ge_u32 s21, s19
	s_cselect_b32 s23, -1, 0
	s_cmp_ge_u32 s20, s18
	s_cselect_b32 s18, -1, 0
	s_cmp_eq_u32 s21, s19
	s_cselect_b32 s18, s18, s23
	s_cmp_lg_u32 s18, 0
	s_cselect_b32 s19, s29, s15
	s_cselect_b32 s18, s28, s11
	s_xor_b64 s[20:21], s[24:25], 0
	s_xor_b64 s[18:19], s[18:19], s[20:21]
	s_sub_u32 s18, s18, s20
	s_cbranch_execnz .LBB3_6
.LBB3_5:
	v_cvt_f32_u32_e32 v1, s22
	s_sub_i32 s11, 0, s22
	v_rcp_iflag_f32_e32 v1, v1
	v_mul_f32_e32 v1, 0x4f7ffffe, v1
	v_cvt_u32_f32_e32 v1, v1
	s_waitcnt lgkmcnt(0)
	v_readfirstlane_b32 s15, v1
	s_mul_i32 s11, s11, s15
	s_mul_hi_u32 s11, s15, s11
	s_add_i32 s15, s15, s11
	s_mul_hi_u32 s11, s9, s15
	s_mul_i32 s16, s11, s22
	s_sub_i32 s9, s9, s16
	s_add_i32 s15, s11, 1
	s_sub_i32 s16, s9, s22
	s_cmp_ge_u32 s9, s22
	s_cselect_b32 s11, s15, s11
	s_cselect_b32 s9, s16, s9
	s_add_i32 s15, s11, 1
	s_cmp_ge_u32 s9, s22
	s_cselect_b32 s18, s15, s11
.LBB3_6:
	s_cmp_eq_u32 s10, s18
	s_waitcnt lgkmcnt(0)
	s_mul_hi_u32 s9, s10, s12
	s_cselect_b64 s[16:17], -1, 0
	s_add_i32 s9, s9, s10
	s_lshr_b32 s11, s9, s13
	s_mul_i32 s9, s11, s14
	s_cmp_eq_u32 s9, s10
	s_mul_hi_u32 s9, s18, s12
	s_cselect_b64 s[20:21], -1, 0
	s_add_i32 s9, s9, s18
	s_lshr_b32 s9, s9, s13
	s_cmp_eq_u32 s11, s9
	s_mul_i32 s9, s9, s14
	s_cselect_b64 s[24:25], -1, 0
	s_cmp_lg_u32 s9, s18
	s_cselect_b64 s[18:19], -1, 0
	s_and_b64 s[18:19], s[24:25], s[18:19]
	s_or_b64 s[16:17], s[16:17], s[20:21]
	s_or_b64 s[16:17], s[16:17], s[18:19]
	s_and_b64 vcc, exec, s[16:17]
	s_cbranch_vccnz .LBB3_23
; %bb.7:
	s_load_dwordx8 s[24:31], s[4:5], 0x20
	s_load_dword s15, s[4:5], 0x40
	s_waitcnt lgkmcnt(0)
	s_mul_hi_u32 s9, s10, s24
	s_add_i32 s9, s9, s10
	s_lshr_b32 s9, s9, s25
	s_mul_i32 s16, s9, s26
	s_sub_i32 s16, s10, s16
	s_mul_hi_u32 s17, s16, s27
	s_add_i32 s17, s16, s17
	s_lshr_b32 s23, s17, s28
	s_mul_i32 s17, s23, s29
	s_sub_i32 s16, s16, s17
	;; [unrolled: 5-line block ×3, first 2 shown]
	s_mul_hi_u32 s16, s15, s12
	s_add_i32 s15, s15, s16
	s_lshr_b32 s24, s15, s13
	s_add_i32 s24, s24, s7
	s_cmp_lt_i32 s24, s0
	s_cselect_b64 s[16:17], -1, 0
	s_add_i32 s25, s25, s8
	s_cmp_lt_i32 s25, s2
	s_cselect_b64 s[18:19], -1, 0
	s_and_b64 s[16:17], s[16:17], s[18:19]
	s_andn2_b64 vcc, exec, s[16:17]
	s_cbranch_vccnz .LBB3_23
; %bb.8:
	s_load_dwordx4 s[16:19], s[4:5], 0x0
	s_mov_b32 s4, 0
	s_lshl_b32 s20, s22, 2
	s_mov_b32 s21, s4
	s_add_i32 s15, s7, s8
	s_lshl_b64 s[20:21], s[20:21], 2
	s_waitcnt lgkmcnt(0)
	s_add_u32 s20, s18, s20
	s_mul_i32 s9, s9, s0
	s_addc_u32 s21, s19, s21
	s_mul_i32 s23, s23, s2
	s_add_i32 s0, s24, s9
	s_mul_i32 s0, s0, s1
	s_add_i32 s1, s25, s23
	s_add_i32 s1, s1, s0
	v_lshl_or_b32 v1, s1, 6, v0
	v_ashrrev_i32_e32 v2, 31, v1
	v_lshlrev_b64 v[1:2], 2, v[1:2]
	v_mov_b32_e32 v3, s17
	v_add_co_u32_e32 v1, vcc, s16, v1
	v_addc_co_u32_e32 v2, vcc, v3, v2, vcc
	global_load_dword v3, v[1:2], off
	v_cvt_f32_u32_e32 v4, s22
	s_add_i32 s0, s15, s6
	s_ashr_i32 s1, s0, 31
	s_lshl_b64 s[0:1], s[0:1], 3
	v_rcp_iflag_f32_e32 v4, v4
	s_add_u32 s0, s18, s0
	s_addc_u32 s1, s19, s1
	s_load_dwordx2 s[0:1], s[0:1], 0x0
	v_mul_f32_e32 v4, 0x4f7ffffe, v4
	v_cvt_u32_f32_e32 v4, v4
	s_add_i32 s24, s6, -1
	s_mov_b32 s2, 0x3fb8aa3b
	s_waitcnt lgkmcnt(0)
	v_mov_b32_e32 v6, s1
	v_mov_b32_e32 v7, s0
	s_mov_b32 s16, 0xc2ce8ed0
	s_mov_b32 s17, 0x42b17218
	;; [unrolled: 1-line block ×3, first 2 shown]
	v_mov_b32_e32 v5, 0x7f800000
	s_mul_hi_i32 s5, s24, s3
	s_cmp_lg_u64 s[4:5], 0
	s_mul_i32 s8, s24, s3
	s_cbranch_scc0 .LBB3_19
.LBB3_9:
	s_add_u32 s0, s22, 0
	s_addc_u32 s1, 0, 0
	s_xor_b64 s[0:1], s[0:1], 0
	v_cvt_f32_u32_e32 v8, s0
	v_cvt_f32_u32_e32 v9, s1
	s_sub_u32 s9, 0, s0
	s_subb_u32 s25, 0, s1
	v_mac_f32_e32 v8, 0x4f800000, v9
	v_rcp_f32_e32 v8, v8
	v_mul_f32_e32 v8, 0x5f7ffffc, v8
	v_mul_f32_e32 v9, 0x2f800000, v8
	v_trunc_f32_e32 v9, v9
	v_mac_f32_e32 v8, 0xcf800000, v9
	v_cvt_u32_f32_e32 v9, v9
	v_cvt_u32_f32_e32 v8, v8
	v_readfirstlane_b32 s26, v9
	v_readfirstlane_b32 s6, v8
	s_mul_i32 s7, s9, s26
	s_mul_hi_u32 s28, s9, s6
	s_mul_i32 s27, s25, s6
	s_add_i32 s7, s28, s7
	s_mul_i32 s29, s9, s6
	s_add_i32 s7, s7, s27
	s_mul_i32 s28, s6, s7
	s_mul_hi_u32 s30, s6, s29
	s_mul_hi_u32 s27, s6, s7
	s_add_u32 s28, s30, s28
	s_addc_u32 s27, 0, s27
	s_mul_hi_u32 s31, s26, s29
	s_mul_i32 s29, s26, s29
	s_add_u32 s28, s28, s29
	s_mul_hi_u32 s30, s26, s7
	s_addc_u32 s27, s27, s31
	s_addc_u32 s28, s30, 0
	s_mul_i32 s7, s26, s7
	s_add_u32 s7, s27, s7
	s_addc_u32 s27, 0, s28
	s_add_u32 s28, s6, s7
	s_cselect_b64 s[6:7], -1, 0
	s_cmp_lg_u64 s[6:7], 0
	s_addc_u32 s26, s26, s27
	s_mul_i32 s6, s9, s26
	s_mul_hi_u32 s7, s9, s28
	s_add_i32 s6, s7, s6
	s_mul_i32 s25, s25, s28
	s_add_i32 s6, s6, s25
	s_mul_i32 s9, s9, s28
	s_mul_hi_u32 s25, s26, s9
	s_mul_i32 s27, s26, s9
	s_mul_i32 s30, s28, s6
	s_mul_hi_u32 s9, s28, s9
	s_mul_hi_u32 s29, s28, s6
	s_add_u32 s9, s9, s30
	s_addc_u32 s29, 0, s29
	s_add_u32 s9, s9, s27
	s_mul_hi_u32 s7, s26, s6
	s_addc_u32 s9, s29, s25
	s_addc_u32 s7, s7, 0
	s_mul_i32 s6, s26, s6
	s_add_u32 s6, s9, s6
	s_addc_u32 s9, 0, s7
	s_add_u32 s25, s28, s6
	s_cselect_b64 s[6:7], -1, 0
	s_cmp_lg_u64 s[6:7], 0
	s_addc_u32 s9, s26, s9
	s_ashr_i32 s6, s5, 31
	s_add_u32 s26, s8, s6
	s_mov_b32 s7, s6
	s_addc_u32 s27, s5, s6
	s_xor_b64 s[26:27], s[26:27], s[6:7]
	s_mul_i32 s28, s26, s9
	s_mul_hi_u32 s29, s26, s25
	s_mul_hi_u32 s5, s26, s9
	s_add_u32 s28, s29, s28
	s_addc_u32 s5, 0, s5
	s_mul_hi_u32 s30, s27, s25
	s_mul_i32 s25, s27, s25
	s_add_u32 s25, s28, s25
	s_mul_hi_u32 s29, s27, s9
	s_addc_u32 s5, s5, s30
	s_addc_u32 s25, s29, 0
	s_mul_i32 s9, s27, s9
	s_add_u32 s5, s5, s9
	s_addc_u32 s9, 0, s25
	s_mul_i32 s25, s0, s9
	s_mul_hi_u32 s28, s0, s5
	s_add_i32 s25, s28, s25
	s_mul_i32 s28, s1, s5
	s_add_i32 s25, s25, s28
	s_sub_i32 s30, s27, s25
	s_mul_i32 s28, s0, s5
	s_sub_u32 s26, s26, s28
	s_cselect_b64 s[28:29], -1, 0
	s_cmp_lg_u64 s[28:29], 0
	s_subb_u32 s33, s30, s1
	s_sub_u32 s34, s26, s0
	s_cselect_b64 s[30:31], -1, 0
	s_cmp_lg_u64 s[30:31], 0
	s_subb_u32 s30, s33, 0
	s_cmp_ge_u32 s30, s1
	s_cselect_b32 s31, -1, 0
	s_cmp_ge_u32 s34, s0
	s_cselect_b32 s33, -1, 0
	s_cmp_eq_u32 s30, s1
	s_cselect_b32 s30, s33, s31
	s_add_u32 s31, s5, 1
	s_addc_u32 s33, s9, 0
	s_add_u32 s34, s5, 2
	s_addc_u32 s35, s9, 0
	s_cmp_lg_u32 s30, 0
	s_cselect_b32 s30, s34, s31
	s_cselect_b32 s31, s35, s33
	s_cmp_lg_u64 s[28:29], 0
	s_subb_u32 s25, s27, s25
	s_cmp_ge_u32 s25, s1
	s_cselect_b32 s27, -1, 0
	s_cmp_ge_u32 s26, s0
	s_cselect_b32 s0, -1, 0
	s_cmp_eq_u32 s25, s1
	s_cselect_b32 s0, s0, s27
	s_cmp_lg_u32 s0, 0
	s_cselect_b32 s1, s31, s9
	s_cselect_b32 s0, s30, s5
	s_xor_b64 s[6:7], s[6:7], 0
	s_xor_b64 s[0:1], s[0:1], s[6:7]
	s_sub_u32 s6, s0, s6
	s_cbranch_execnz .LBB3_11
.LBB3_10:
	s_sub_i32 s0, 0, s22
	v_readfirstlane_b32 s1, v4
	s_mul_i32 s0, s0, s1
	s_mul_hi_u32 s0, s1, s0
	s_add_i32 s1, s1, s0
	s_mul_hi_u32 s0, s8, s1
	s_mul_i32 s5, s0, s22
	s_sub_i32 s5, s8, s5
	s_add_i32 s1, s0, 1
	s_sub_i32 s6, s5, s22
	s_cmp_ge_u32 s5, s22
	s_cselect_b32 s0, s1, s0
	s_cselect_b32 s5, s6, s5
	s_add_i32 s1, s0, 1
	s_cmp_ge_u32 s5, s22
	s_cselect_b32 s6, s1, s0
.LBB3_11:
	s_cmp_lg_u32 s10, s6
	s_mov_b64 s[8:9], -1
                                        ; implicit-def: $sgpr0_sgpr1
                                        ; implicit-def: $vgpr10
                                        ; implicit-def: $vgpr8
                                        ; implicit-def: $vgpr9
                                        ; implicit-def: $sgpr5
                                        ; implicit-def: $sgpr7
	s_cbranch_scc1 .LBB3_14
; %bb.12:
	s_andn2_b64 vcc, exec, s[8:9]
	s_cbranch_vccz .LBB3_17
.LBB3_13:
	s_andn2_b64 vcc, exec, s[0:1]
	s_cbranch_vccnz .LBB3_18
	s_branch .LBB3_22
.LBB3_14:
	s_add_i32 s25, s24, s15
	s_add_i32 s0, s25, s22
	s_mov_b32 s1, s4
	s_lshl_b64 s[0:1], s[0:1], 3
	s_add_u32 s8, s18, s0
	s_mul_hi_u32 s0, s6, s12
	s_addc_u32 s9, s19, s1
	s_add_i32 s0, s0, s6
	s_lshr_b32 s5, s0, s13
	s_mul_i32 s0, s5, s14
	s_cmp_eq_u32 s0, s6
	s_cselect_b64 s[0:1], -1, 0
	s_cmp_lt_u32 s5, s11
	s_cselect_b64 s[26:27], -1, 0
	s_or_b64 s[26:27], s[26:27], s[0:1]
	s_mov_b64 s[0:1], -1
	s_and_b64 vcc, exec, s[26:27]
	s_mov_b32 s5, s24
	s_mov_b32 s7, s10
	s_cbranch_vccnz .LBB3_16
; %bb.15:
	s_add_i32 s5, s24, -1
	s_mov_b64 s[0:1], 0
	s_mov_b32 s7, s6
.LBB3_16:
	v_lshl_or_b32 v8, s25, 6, v0
	v_ashrrev_i32_e32 v9, 31, v8
	v_lshlrev_b64 v[8:9], 2, v[8:9]
	v_mov_b32_e32 v10, s21
	v_add_co_u32_e32 v8, vcc, s20, v8
	v_addc_co_u32_e32 v9, vcc, v10, v9, vcc
	global_load_dword v10, v[8:9], off
	s_load_dwordx2 s[8:9], s[8:9], 0x0
	v_max_f32_e32 v8, v7, v7
	s_waitcnt lgkmcnt(0)
	v_max_f32_e64 v9, s8, s8
	v_max_f32_e32 v8, v8, v9
	v_sub_f32_e32 v9, v7, v8
	v_sub_f32_e32 v11, s8, v8
	v_mul_f32_e32 v12, 0x3fb8aa3b, v9
	v_mul_f32_e32 v13, 0x3fb8aa3b, v11
	v_fma_f32 v14, v9, s2, -v12
	v_rndne_f32_e32 v15, v12
	v_fma_f32 v16, v11, s2, -v13
	v_rndne_f32_e32 v17, v13
	v_fmac_f32_e32 v14, 0x32a5705f, v9
	v_sub_f32_e32 v12, v12, v15
	v_fmac_f32_e32 v16, 0x32a5705f, v11
	v_sub_f32_e32 v13, v13, v17
	v_add_f32_e32 v12, v12, v14
	v_cvt_i32_f32_e32 v15, v15
	v_add_f32_e32 v13, v13, v16
	v_exp_f32_e32 v12, v12
	v_cvt_i32_f32_e32 v17, v17
	v_exp_f32_e32 v13, v13
	v_cmp_ngt_f32_e32 vcc, s16, v9
	v_ldexp_f32 v12, v12, v15
	v_cndmask_b32_e32 v12, 0, v12, vcc
	v_ldexp_f32 v13, v13, v17
	v_cmp_ngt_f32_e32 vcc, s16, v11
	v_cndmask_b32_e32 v13, 0, v13, vcc
	v_cmp_nlt_f32_e32 vcc, s17, v9
	v_cndmask_b32_e32 v12, v5, v12, vcc
	v_cmp_nlt_f32_e32 vcc, s17, v11
	v_cndmask_b32_e32 v13, v5, v13, vcc
	v_cmp_le_f32_e32 vcc, s23, v9
	v_cndmask_b32_e32 v12, 0, v12, vcc
	v_cmp_le_f32_e32 vcc, s23, v11
	v_cndmask_b32_e32 v11, 0, v13, vcc
	v_mul_f32_e32 v9, s9, v11
	v_fmac_f32_e32 v9, v6, v12
	s_waitcnt vmcnt(0)
	v_mul_f32_e32 v10, v10, v11
	v_fmac_f32_e32 v10, v3, v12
	s_cbranch_execnz .LBB3_13
.LBB3_17:
	s_add_i32 s5, s24, -1
	s_mov_b32 s7, s10
	v_mov_b32_e32 v9, v6
	v_mov_b32_e32 v8, v7
	s_waitcnt vmcnt(0)
	v_mov_b32_e32 v10, v3
	s_cbranch_execz .LBB3_22
.LBB3_18:
	s_mov_b32 s10, s7
	s_mov_b32 s24, s5
	v_mov_b32_e32 v6, v9
	v_mov_b32_e32 v7, v8
	s_waitcnt vmcnt(0)
	v_mov_b32_e32 v3, v10
	s_mul_hi_i32 s5, s24, s3
	s_cmp_lg_u64 s[4:5], 0
	s_mul_i32 s8, s24, s3
	s_cbranch_scc1 .LBB3_9
.LBB3_19:
                                        ; implicit-def: $sgpr6_sgpr7
	s_branch .LBB3_10
.LBB3_20:
                                        ; implicit-def: $sgpr10_sgpr11
	s_load_dwordx4 s[12:15], s[4:5], 0x44
	s_branch .LBB3_2
.LBB3_21:
                                        ; implicit-def: $sgpr18_sgpr19
	s_branch .LBB3_5
.LBB3_22:
	v_div_scale_f32 v0, s[0:1], v9, v9, v10
	s_waitcnt vmcnt(0)
	v_div_scale_f32 v3, vcc, v10, v9, v10
	v_rcp_f32_e32 v4, v0
	v_fma_f32 v5, -v0, v4, 1.0
	v_fmac_f32_e32 v4, v5, v4
	v_mul_f32_e32 v5, v3, v4
	v_fma_f32 v6, -v0, v5, v3
	v_fmac_f32_e32 v5, v6, v4
	v_fma_f32 v0, -v0, v5, v3
	v_div_fmas_f32 v0, v0, v4, v5
	v_div_fixup_f32 v0, v0, v9, v10
	global_store_dword v[1:2], v0, off
.LBB3_23:
	s_endpgm
	.section	.rodata,"a",@progbits
	.p2align	6, 0x0
	.amdhsa_kernel _ZL33flash_attn_stream_k_fixup_generalILi64ELi1ELi1EEvPfPK15HIP_vector_typeIfLj2EEiiiiS1_IjLj3EES5_S5_S5_
		.amdhsa_group_segment_fixed_size 0
		.amdhsa_private_segment_fixed_size 0
		.amdhsa_kernarg_size 336
		.amdhsa_user_sgpr_count 6
		.amdhsa_user_sgpr_private_segment_buffer 1
		.amdhsa_user_sgpr_dispatch_ptr 0
		.amdhsa_user_sgpr_queue_ptr 0
		.amdhsa_user_sgpr_kernarg_segment_ptr 1
		.amdhsa_user_sgpr_dispatch_id 0
		.amdhsa_user_sgpr_flat_scratch_init 0
		.amdhsa_user_sgpr_private_segment_size 0
		.amdhsa_uses_dynamic_stack 0
		.amdhsa_system_sgpr_private_segment_wavefront_offset 0
		.amdhsa_system_sgpr_workgroup_id_x 1
		.amdhsa_system_sgpr_workgroup_id_y 1
		.amdhsa_system_sgpr_workgroup_id_z 1
		.amdhsa_system_sgpr_workgroup_info 0
		.amdhsa_system_vgpr_workitem_id 0
		.amdhsa_next_free_vgpr 18
		.amdhsa_next_free_sgpr 36
		.amdhsa_reserve_vcc 1
		.amdhsa_reserve_flat_scratch 0
		.amdhsa_float_round_mode_32 0
		.amdhsa_float_round_mode_16_64 0
		.amdhsa_float_denorm_mode_32 3
		.amdhsa_float_denorm_mode_16_64 3
		.amdhsa_dx10_clamp 1
		.amdhsa_ieee_mode 1
		.amdhsa_fp16_overflow 0
		.amdhsa_exception_fp_ieee_invalid_op 0
		.amdhsa_exception_fp_denorm_src 0
		.amdhsa_exception_fp_ieee_div_zero 0
		.amdhsa_exception_fp_ieee_overflow 0
		.amdhsa_exception_fp_ieee_underflow 0
		.amdhsa_exception_fp_ieee_inexact 0
		.amdhsa_exception_int_div_zero 0
	.end_amdhsa_kernel
	.section	.text._ZL33flash_attn_stream_k_fixup_generalILi64ELi1ELi1EEvPfPK15HIP_vector_typeIfLj2EEiiiiS1_IjLj3EES5_S5_S5_,"axG",@progbits,_ZL33flash_attn_stream_k_fixup_generalILi64ELi1ELi1EEvPfPK15HIP_vector_typeIfLj2EEiiiiS1_IjLj3EES5_S5_S5_,comdat
.Lfunc_end3:
	.size	_ZL33flash_attn_stream_k_fixup_generalILi64ELi1ELi1EEvPfPK15HIP_vector_typeIfLj2EEiiiiS1_IjLj3EES5_S5_S5_, .Lfunc_end3-_ZL33flash_attn_stream_k_fixup_generalILi64ELi1ELi1EEvPfPK15HIP_vector_typeIfLj2EEiiiiS1_IjLj3EES5_S5_S5_
                                        ; -- End function
	.set _ZL33flash_attn_stream_k_fixup_generalILi64ELi1ELi1EEvPfPK15HIP_vector_typeIfLj2EEiiiiS1_IjLj3EES5_S5_S5_.num_vgpr, 18
	.set _ZL33flash_attn_stream_k_fixup_generalILi64ELi1ELi1EEvPfPK15HIP_vector_typeIfLj2EEiiiiS1_IjLj3EES5_S5_S5_.num_agpr, 0
	.set _ZL33flash_attn_stream_k_fixup_generalILi64ELi1ELi1EEvPfPK15HIP_vector_typeIfLj2EEiiiiS1_IjLj3EES5_S5_S5_.numbered_sgpr, 36
	.set _ZL33flash_attn_stream_k_fixup_generalILi64ELi1ELi1EEvPfPK15HIP_vector_typeIfLj2EEiiiiS1_IjLj3EES5_S5_S5_.num_named_barrier, 0
	.set _ZL33flash_attn_stream_k_fixup_generalILi64ELi1ELi1EEvPfPK15HIP_vector_typeIfLj2EEiiiiS1_IjLj3EES5_S5_S5_.private_seg_size, 0
	.set _ZL33flash_attn_stream_k_fixup_generalILi64ELi1ELi1EEvPfPK15HIP_vector_typeIfLj2EEiiiiS1_IjLj3EES5_S5_S5_.uses_vcc, 1
	.set _ZL33flash_attn_stream_k_fixup_generalILi64ELi1ELi1EEvPfPK15HIP_vector_typeIfLj2EEiiiiS1_IjLj3EES5_S5_S5_.uses_flat_scratch, 0
	.set _ZL33flash_attn_stream_k_fixup_generalILi64ELi1ELi1EEvPfPK15HIP_vector_typeIfLj2EEiiiiS1_IjLj3EES5_S5_S5_.has_dyn_sized_stack, 0
	.set _ZL33flash_attn_stream_k_fixup_generalILi64ELi1ELi1EEvPfPK15HIP_vector_typeIfLj2EEiiiiS1_IjLj3EES5_S5_S5_.has_recursion, 0
	.set _ZL33flash_attn_stream_k_fixup_generalILi64ELi1ELi1EEvPfPK15HIP_vector_typeIfLj2EEiiiiS1_IjLj3EES5_S5_S5_.has_indirect_call, 0
	.section	.AMDGPU.csdata,"",@progbits
; Kernel info:
; codeLenInByte = 2896
; TotalNumSgprs: 40
; NumVgprs: 18
; ScratchSize: 0
; MemoryBound: 0
; FloatMode: 240
; IeeeMode: 1
; LDSByteSize: 0 bytes/workgroup (compile time only)
; SGPRBlocks: 4
; VGPRBlocks: 4
; NumSGPRsForWavesPerEU: 40
; NumVGPRsForWavesPerEU: 18
; Occupancy: 10
; WaveLimiterHint : 0
; COMPUTE_PGM_RSRC2:SCRATCH_EN: 0
; COMPUTE_PGM_RSRC2:USER_SGPR: 6
; COMPUTE_PGM_RSRC2:TRAP_HANDLER: 0
; COMPUTE_PGM_RSRC2:TGID_X_EN: 1
; COMPUTE_PGM_RSRC2:TGID_Y_EN: 1
; COMPUTE_PGM_RSRC2:TGID_Z_EN: 1
; COMPUTE_PGM_RSRC2:TIDIG_COMP_CNT: 0
	.section	.text._ZL26flash_attn_combine_resultsILi64EEvPKfPK15HIP_vector_typeIfLj2EEPfi,"axG",@progbits,_ZL26flash_attn_combine_resultsILi64EEvPKfPK15HIP_vector_typeIfLj2EEPfi,comdat
	.globl	_ZL26flash_attn_combine_resultsILi64EEvPKfPK15HIP_vector_typeIfLj2EEPfi ; -- Begin function _ZL26flash_attn_combine_resultsILi64EEvPKfPK15HIP_vector_typeIfLj2EEPfi
	.p2align	8
	.type	_ZL26flash_attn_combine_resultsILi64EEvPKfPK15HIP_vector_typeIfLj2EEPfi,@function
_ZL26flash_attn_combine_resultsILi64EEvPKfPK15HIP_vector_typeIfLj2EEPfi: ; @_ZL26flash_attn_combine_resultsILi64EEvPKfPK15HIP_vector_typeIfLj2EEPfi
; %bb.0:
	s_load_dwordx2 s[12:13], s[4:5], 0x20
	s_load_dword s9, s[4:5], 0x18
	s_load_dwordx4 s[0:3], s[4:5], 0x0
	s_load_dwordx2 s[10:11], s[4:5], 0x10
	v_lshlrev_b32_e32 v4, 2, v0
	s_waitcnt lgkmcnt(0)
	s_mul_i32 s4, s12, s8
	s_add_i32 s4, s4, s6
	s_mul_i32 s8, s4, s13
	s_add_i32 s8, s8, s7
	s_lshl_b32 s12, s9, 1
	s_mul_i32 s4, s8, s9
	v_cmp_gt_i32_e32 vcc, s12, v0
	s_and_saveexec_b64 s[6:7], vcc
	s_cbranch_execz .LBB4_3
; %bb.1:
	s_ashr_i32 s5, s4, 31
	s_lshl_b64 s[14:15], s[4:5], 3
	s_add_u32 s2, s2, s14
	s_addc_u32 s3, s3, s15
	v_mov_b32_e32 v2, s3
	v_add_co_u32_e32 v1, vcc, s2, v4
	v_addc_co_u32_e32 v2, vcc, 0, v2, vcc
	v_add_u32_e32 v3, 0, v4
	s_mov_b64 s[2:3], 0
	v_mov_b32_e32 v5, v0
.LBB4_2:                                ; =>This Inner Loop Header: Depth=1
	global_load_dword v6, v[1:2], off
	v_add_co_u32_e32 v1, vcc, 0x100, v1
	v_add_u32_e32 v5, 64, v5
	v_addc_co_u32_e32 v2, vcc, 0, v2, vcc
	v_cmp_le_i32_e32 vcc, s12, v5
	s_or_b64 s[2:3], vcc, s[2:3]
	s_waitcnt vmcnt(0)
	ds_write_b32 v3, v6
	v_add_u32_e32 v3, 0x100, v3
	s_andn2_b64 exec, exec, s[2:3]
	s_cbranch_execnz .LBB4_2
.LBB4_3:
	s_or_b64 exec, exec, s[6:7]
	v_mov_b32_e32 v1, 0
	s_waitcnt lgkmcnt(0)
	; wave barrier
	ds_read_b32 v5, v1
	s_cmp_lt_i32 s9, 2
	s_cbranch_scc1 .LBB4_11
; %bb.4:
	s_add_i32 s2, s9, -1
	s_add_i32 s3, s9, -2
	s_cmp_lt_u32 s3, 7
	s_cbranch_scc1 .LBB4_8
; %bb.5:
	s_mov_b32 s6, 0
	s_add_i32 s3, 0, 8
	s_and_b32 s5, s2, -8
.LBB4_6:                                ; =>This Inner Loop Header: Depth=1
	v_mov_b32_e32 v3, s3
	ds_read2_b32 v[1:2], v3 offset1:2
	ds_read2_b32 v[6:7], v3 offset0:4 offset1:6
	ds_read2_b32 v[8:9], v3 offset0:8 offset1:10
	;; [unrolled: 1-line block ×3, first 2 shown]
	s_mov_b32 s7, s6
	s_waitcnt lgkmcnt(3)
	v_max3_f32 v1, v5, v1, v2
	s_waitcnt lgkmcnt(2)
	v_max3_f32 v1, v1, v6, v7
	s_add_i32 s3, s3, 64
	s_add_i32 s6, s6, 8
	s_waitcnt lgkmcnt(1)
	v_max3_f32 v1, v1, v8, v9
	s_cmp_eq_u32 s5, s6
	s_waitcnt lgkmcnt(0)
	v_max3_f32 v5, v1, v10, v11
	s_cbranch_scc0 .LBB4_6
; %bb.7:
	s_add_i32 s3, s7, 9
	s_and_b32 s2, s2, 7
	s_cmp_eq_u32 s2, 0
	s_cbranch_scc0 .LBB4_9
	s_branch .LBB4_11
.LBB4_8:
	s_mov_b32 s3, 1
	s_and_b32 s2, s2, 7
	s_cmp_eq_u32 s2, 0
	s_cbranch_scc1 .LBB4_11
.LBB4_9:
	s_lshl_b32 s3, s3, 3
	s_add_i32 s3, s3, 0
.LBB4_10:                               ; =>This Inner Loop Header: Depth=1
	v_mov_b32_e32 v1, s3
	ds_read_b32 v1, v1
	s_waitcnt lgkmcnt(1)
	v_max_f32_e32 v2, v5, v5
	s_add_i32 s3, s3, 8
	s_add_i32 s2, s2, -1
	s_cmp_lg_u32 s2, 0
	s_waitcnt lgkmcnt(0)
	v_max_f32_e32 v1, v1, v1
	v_max_f32_e32 v5, v2, v1
	s_cbranch_scc1 .LBB4_10
.LBB4_11:
	s_cmp_lt_i32 s9, 1
	s_cbranch_scc1 .LBB4_16
; %bb.12:
	s_lshl_b32 s2, s4, 6
	s_ashr_i32 s3, s2, 31
	s_lshl_b64 s[2:3], s[2:3], 2
	s_add_u32 s0, s0, s2
	s_addc_u32 s1, s1, s3
	s_cmp_lt_u32 s9, 8
	s_cbranch_scc1 .LBB4_17
; %bb.13:
	s_and_b32 s2, s9, 0x7ffffff8
	v_or_b32_e32 v1, 0x1c0, v0
	s_mov_b32 s3, 0
	v_mov_b32_e32 v3, 0
	v_mov_b32_e32 v6, 0
	s_mov_b32 s4, 0x3fb8aa3b
	s_mov_b32 s5, 0xc2ce8ed0
	s_mov_b32 s6, 0x42b17218
	v_mov_b32_e32 v8, 0x7f800000
	v_mov_b32_e32 v9, s1
	s_mov_b32 s7, 0
	v_mov_b32_e32 v7, 0
.LBB4_14:                               ; =>This Inner Loop Header: Depth=1
	v_mov_b32_e32 v16, s3
	ds_read2_b64 v[10:13], v16 offset1:1
	s_add_i32 s7, s7, 8
	s_add_i32 s3, s3, 64
	s_cmp_eq_u32 s2, s7
	s_waitcnt lgkmcnt(0)
	v_sub_f32_e32 v2, v10, v5
	v_mul_f32_e32 v10, 0x3fb8aa3b, v2
	v_fma_f32 v14, v2, s4, -v10
	v_rndne_f32_e32 v15, v10
	v_fmac_f32_e32 v14, 0x32a5705f, v2
	v_sub_f32_e32 v10, v10, v15
	v_add_f32_e32 v10, v10, v14
	v_exp_f32_e32 v10, v10
	v_cvt_i32_f32_e32 v14, v15
	v_cmp_ngt_f32_e32 vcc, s5, v2
	v_ldexp_f32 v10, v10, v14
	v_cndmask_b32_e32 v10, 0, v10, vcc
	v_cmp_nlt_f32_e32 vcc, s6, v2
	v_add_u32_e32 v2, 0xfffffe40, v1
	v_lshlrev_b64 v[14:15], 2, v[2:3]
	v_cndmask_b32_e32 v10, v8, v10, vcc
	v_add_co_u32_e32 v14, vcc, s0, v14
	v_addc_co_u32_e32 v15, vcc, v9, v15, vcc
	global_load_dword v2, v[14:15], off
	v_fmac_f32_e32 v7, v10, v11
	s_waitcnt vmcnt(0)
	v_fmac_f32_e32 v6, v2, v10
	v_sub_f32_e32 v2, v12, v5
	v_mul_f32_e32 v10, 0x3fb8aa3b, v2
	v_fma_f32 v11, v2, s4, -v10
	v_rndne_f32_e32 v12, v10
	v_fmac_f32_e32 v11, 0x32a5705f, v2
	v_sub_f32_e32 v10, v10, v12
	v_add_f32_e32 v10, v10, v11
	v_exp_f32_e32 v10, v10
	v_cvt_i32_f32_e32 v11, v12
	v_cmp_ngt_f32_e32 vcc, s5, v2
	v_ldexp_f32 v10, v10, v11
	v_cndmask_b32_e32 v10, 0, v10, vcc
	v_cmp_nlt_f32_e32 vcc, s6, v2
	v_add_u32_e32 v2, 0xfffffe80, v1
	v_cndmask_b32_e32 v12, v8, v10, vcc
	v_lshlrev_b64 v[10:11], 2, v[2:3]
	v_fmac_f32_e32 v7, v12, v13
	v_add_co_u32_e32 v10, vcc, s0, v10
	v_addc_co_u32_e32 v11, vcc, v9, v11, vcc
	global_load_dword v2, v[10:11], off
	s_waitcnt vmcnt(0)
	v_fmac_f32_e32 v6, v2, v12
	ds_read2_b64 v[10:13], v16 offset0:2 offset1:3
	s_waitcnt lgkmcnt(0)
	v_sub_f32_e32 v2, v10, v5
	v_mul_f32_e32 v10, 0x3fb8aa3b, v2
	v_fma_f32 v14, v2, s4, -v10
	v_rndne_f32_e32 v15, v10
	v_fmac_f32_e32 v14, 0x32a5705f, v2
	v_sub_f32_e32 v10, v10, v15
	v_add_f32_e32 v10, v10, v14
	v_exp_f32_e32 v10, v10
	v_cvt_i32_f32_e32 v14, v15
	v_cmp_ngt_f32_e32 vcc, s5, v2
	v_ldexp_f32 v10, v10, v14
	v_cndmask_b32_e32 v10, 0, v10, vcc
	v_cmp_nlt_f32_e32 vcc, s6, v2
	v_add_u32_e32 v2, 0xfffffec0, v1
	v_lshlrev_b64 v[14:15], 2, v[2:3]
	v_cndmask_b32_e32 v10, v8, v10, vcc
	v_add_co_u32_e32 v14, vcc, s0, v14
	v_addc_co_u32_e32 v15, vcc, v9, v15, vcc
	global_load_dword v2, v[14:15], off
	v_fmac_f32_e32 v7, v10, v11
	s_waitcnt vmcnt(0)
	v_fmac_f32_e32 v6, v2, v10
	v_sub_f32_e32 v2, v12, v5
	v_mul_f32_e32 v10, 0x3fb8aa3b, v2
	v_fma_f32 v11, v2, s4, -v10
	v_rndne_f32_e32 v12, v10
	v_fmac_f32_e32 v11, 0x32a5705f, v2
	v_sub_f32_e32 v10, v10, v12
	v_add_f32_e32 v10, v10, v11
	v_exp_f32_e32 v10, v10
	v_cvt_i32_f32_e32 v11, v12
	v_cmp_ngt_f32_e32 vcc, s5, v2
	v_ldexp_f32 v10, v10, v11
	v_cndmask_b32_e32 v10, 0, v10, vcc
	v_cmp_nlt_f32_e32 vcc, s6, v2
	v_add_u32_e32 v2, 0xffffff00, v1
	v_cndmask_b32_e32 v12, v8, v10, vcc
	v_lshlrev_b64 v[10:11], 2, v[2:3]
	v_fmac_f32_e32 v7, v12, v13
	v_add_co_u32_e32 v10, vcc, s0, v10
	v_addc_co_u32_e32 v11, vcc, v9, v11, vcc
	global_load_dword v2, v[10:11], off
	s_waitcnt vmcnt(0)
	v_fmac_f32_e32 v6, v2, v12
	ds_read2_b64 v[10:13], v16 offset0:4 offset1:5
	;; [unrolled: 46-line block ×3, first 2 shown]
	s_waitcnt lgkmcnt(0)
	v_sub_f32_e32 v2, v10, v5
	v_mul_f32_e32 v10, 0x3fb8aa3b, v2
	v_fma_f32 v14, v2, s4, -v10
	v_rndne_f32_e32 v15, v10
	v_fmac_f32_e32 v14, 0x32a5705f, v2
	v_sub_f32_e32 v10, v10, v15
	v_add_f32_e32 v10, v10, v14
	v_exp_f32_e32 v10, v10
	v_cvt_i32_f32_e32 v14, v15
	v_cmp_ngt_f32_e32 vcc, s5, v2
	v_ldexp_f32 v10, v10, v14
	v_cndmask_b32_e32 v10, 0, v10, vcc
	v_cmp_nlt_f32_e32 vcc, s6, v2
	v_subrev_u32_e32 v2, 64, v1
	v_lshlrev_b64 v[14:15], 2, v[2:3]
	v_cndmask_b32_e32 v10, v8, v10, vcc
	v_add_co_u32_e32 v14, vcc, s0, v14
	v_addc_co_u32_e32 v15, vcc, v9, v15, vcc
	global_load_dword v2, v[14:15], off
	v_fmac_f32_e32 v7, v10, v11
	s_waitcnt vmcnt(0)
	v_fmac_f32_e32 v6, v2, v10
	v_sub_f32_e32 v2, v12, v5
	v_mul_f32_e32 v10, 0x3fb8aa3b, v2
	v_fma_f32 v11, v2, s4, -v10
	v_rndne_f32_e32 v12, v10
	v_fmac_f32_e32 v11, 0x32a5705f, v2
	v_sub_f32_e32 v10, v10, v12
	v_add_f32_e32 v10, v10, v11
	v_exp_f32_e32 v10, v10
	v_cvt_i32_f32_e32 v11, v12
	v_cmp_ngt_f32_e32 vcc, s5, v2
	v_ldexp_f32 v10, v10, v11
	v_cndmask_b32_e32 v10, 0, v10, vcc
	v_cmp_nlt_f32_e32 vcc, s6, v2
	v_mov_b32_e32 v2, v3
	v_cndmask_b32_e32 v12, v8, v10, vcc
	v_lshlrev_b64 v[10:11], 2, v[1:2]
	v_fmac_f32_e32 v7, v12, v13
	v_add_co_u32_e32 v10, vcc, s0, v10
	v_addc_co_u32_e32 v11, vcc, v9, v11, vcc
	global_load_dword v2, v[10:11], off
	v_add_u32_e32 v1, 0x200, v1
	s_waitcnt vmcnt(0)
	v_fmac_f32_e32 v6, v2, v12
	s_cbranch_scc0 .LBB4_14
; %bb.15:
	s_and_b32 s3, s9, 7
	s_cmp_eq_u32 s3, 0
	s_cbranch_scc0 .LBB4_18
	s_branch .LBB4_20
.LBB4_16:
	v_mov_b32_e32 v0, 0x7fc00000
	s_branch .LBB4_21
.LBB4_17:
	s_mov_b32 s2, 0
	v_mov_b32_e32 v6, 0
	v_mov_b32_e32 v7, 0
	s_and_b32 s3, s9, 7
	s_cmp_eq_u32 s3, 0
	s_cbranch_scc1 .LBB4_20
.LBB4_18:
	v_lshl_or_b32 v0, s2, 6, v0
	s_lshl_b32 s2, s2, 3
	s_add_i32 s2, s2, 0
	s_mov_b32 s4, 0x3fb8aa3b
	s_mov_b32 s5, 0xc2ce8ed0
	;; [unrolled: 1-line block ×3, first 2 shown]
	v_mov_b32_e32 v2, 0x7f800000
	v_mov_b32_e32 v1, 0
	;; [unrolled: 1-line block ×3, first 2 shown]
.LBB4_19:                               ; =>This Inner Loop Header: Depth=1
	v_lshlrev_b64 v[8:9], 2, v[0:1]
	s_add_i32 s3, s3, -1
	v_add_co_u32_e32 v8, vcc, s0, v8
	v_addc_co_u32_e32 v9, vcc, v3, v9, vcc
	global_load_dword v10, v[8:9], off
	v_mov_b32_e32 v8, s2
	ds_read_b64 v[8:9], v8
	s_add_i32 s2, s2, 8
	v_add_u32_e32 v0, 64, v0
	s_cmp_lg_u32 s3, 0
	s_waitcnt lgkmcnt(0)
	v_sub_f32_e32 v8, v8, v5
	v_mul_f32_e32 v11, 0x3fb8aa3b, v8
	v_fma_f32 v12, v8, s4, -v11
	v_rndne_f32_e32 v13, v11
	v_fmac_f32_e32 v12, 0x32a5705f, v8
	v_sub_f32_e32 v11, v11, v13
	v_add_f32_e32 v11, v11, v12
	v_cvt_i32_f32_e32 v13, v13
	v_exp_f32_e32 v11, v11
	v_cmp_ngt_f32_e32 vcc, s5, v8
	v_ldexp_f32 v11, v11, v13
	v_cndmask_b32_e32 v11, 0, v11, vcc
	v_cmp_nlt_f32_e32 vcc, s6, v8
	v_cndmask_b32_e32 v8, v2, v11, vcc
	v_fmac_f32_e32 v7, v8, v9
	s_waitcnt vmcnt(0)
	v_fmac_f32_e32 v6, v10, v8
	s_cbranch_scc1 .LBB4_19
.LBB4_20:
	v_div_scale_f32 v0, s[0:1], v7, v7, v6
	v_div_scale_f32 v1, vcc, v6, v7, v6
	v_rcp_f32_e32 v2, v0
	v_fma_f32 v3, -v0, v2, 1.0
	v_fmac_f32_e32 v2, v3, v2
	v_mul_f32_e32 v3, v1, v2
	s_waitcnt lgkmcnt(0)
	v_fma_f32 v5, -v0, v3, v1
	v_fmac_f32_e32 v3, v5, v2
	v_fma_f32 v0, -v0, v3, v1
	v_div_fmas_f32 v0, v0, v2, v3
	v_div_fixup_f32 v0, v0, v7, v6
.LBB4_21:
	s_lshl_b32 s0, s8, 6
	s_ashr_i32 s1, s0, 31
	s_lshl_b64 s[0:1], s[0:1], 2
	s_add_u32 s0, s10, s0
	s_addc_u32 s1, s11, s1
	global_store_dword v4, v0, s[0:1]
	s_endpgm
	.section	.rodata,"a",@progbits
	.p2align	6, 0x0
	.amdhsa_kernel _ZL26flash_attn_combine_resultsILi64EEvPKfPK15HIP_vector_typeIfLj2EEPfi
		.amdhsa_group_segment_fixed_size 0
		.amdhsa_private_segment_fixed_size 0
		.amdhsa_kernarg_size 288
		.amdhsa_user_sgpr_count 6
		.amdhsa_user_sgpr_private_segment_buffer 1
		.amdhsa_user_sgpr_dispatch_ptr 0
		.amdhsa_user_sgpr_queue_ptr 0
		.amdhsa_user_sgpr_kernarg_segment_ptr 1
		.amdhsa_user_sgpr_dispatch_id 0
		.amdhsa_user_sgpr_flat_scratch_init 0
		.amdhsa_user_sgpr_private_segment_size 0
		.amdhsa_uses_dynamic_stack 0
		.amdhsa_system_sgpr_private_segment_wavefront_offset 0
		.amdhsa_system_sgpr_workgroup_id_x 1
		.amdhsa_system_sgpr_workgroup_id_y 1
		.amdhsa_system_sgpr_workgroup_id_z 1
		.amdhsa_system_sgpr_workgroup_info 0
		.amdhsa_system_vgpr_workitem_id 0
		.amdhsa_next_free_vgpr 17
		.amdhsa_next_free_sgpr 16
		.amdhsa_reserve_vcc 1
		.amdhsa_reserve_flat_scratch 0
		.amdhsa_float_round_mode_32 0
		.amdhsa_float_round_mode_16_64 0
		.amdhsa_float_denorm_mode_32 3
		.amdhsa_float_denorm_mode_16_64 3
		.amdhsa_dx10_clamp 1
		.amdhsa_ieee_mode 1
		.amdhsa_fp16_overflow 0
		.amdhsa_exception_fp_ieee_invalid_op 0
		.amdhsa_exception_fp_denorm_src 0
		.amdhsa_exception_fp_ieee_div_zero 0
		.amdhsa_exception_fp_ieee_overflow 0
		.amdhsa_exception_fp_ieee_underflow 0
		.amdhsa_exception_fp_ieee_inexact 0
		.amdhsa_exception_int_div_zero 0
	.end_amdhsa_kernel
	.section	.text._ZL26flash_attn_combine_resultsILi64EEvPKfPK15HIP_vector_typeIfLj2EEPfi,"axG",@progbits,_ZL26flash_attn_combine_resultsILi64EEvPKfPK15HIP_vector_typeIfLj2EEPfi,comdat
.Lfunc_end4:
	.size	_ZL26flash_attn_combine_resultsILi64EEvPKfPK15HIP_vector_typeIfLj2EEPfi, .Lfunc_end4-_ZL26flash_attn_combine_resultsILi64EEvPKfPK15HIP_vector_typeIfLj2EEPfi
                                        ; -- End function
	.set _ZL26flash_attn_combine_resultsILi64EEvPKfPK15HIP_vector_typeIfLj2EEPfi.num_vgpr, 17
	.set _ZL26flash_attn_combine_resultsILi64EEvPKfPK15HIP_vector_typeIfLj2EEPfi.num_agpr, 0
	.set _ZL26flash_attn_combine_resultsILi64EEvPKfPK15HIP_vector_typeIfLj2EEPfi.numbered_sgpr, 16
	.set _ZL26flash_attn_combine_resultsILi64EEvPKfPK15HIP_vector_typeIfLj2EEPfi.num_named_barrier, 0
	.set _ZL26flash_attn_combine_resultsILi64EEvPKfPK15HIP_vector_typeIfLj2EEPfi.private_seg_size, 0
	.set _ZL26flash_attn_combine_resultsILi64EEvPKfPK15HIP_vector_typeIfLj2EEPfi.uses_vcc, 1
	.set _ZL26flash_attn_combine_resultsILi64EEvPKfPK15HIP_vector_typeIfLj2EEPfi.uses_flat_scratch, 0
	.set _ZL26flash_attn_combine_resultsILi64EEvPKfPK15HIP_vector_typeIfLj2EEPfi.has_dyn_sized_stack, 0
	.set _ZL26flash_attn_combine_resultsILi64EEvPKfPK15HIP_vector_typeIfLj2EEPfi.has_recursion, 0
	.set _ZL26flash_attn_combine_resultsILi64EEvPKfPK15HIP_vector_typeIfLj2EEPfi.has_indirect_call, 0
	.section	.AMDGPU.csdata,"",@progbits
; Kernel info:
; codeLenInByte = 1892
; TotalNumSgprs: 20
; NumVgprs: 17
; ScratchSize: 0
; MemoryBound: 0
; FloatMode: 240
; IeeeMode: 1
; LDSByteSize: 0 bytes/workgroup (compile time only)
; SGPRBlocks: 2
; VGPRBlocks: 4
; NumSGPRsForWavesPerEU: 20
; NumVGPRsForWavesPerEU: 17
; Occupancy: 10
; WaveLimiterHint : 0
; COMPUTE_PGM_RSRC2:SCRATCH_EN: 0
; COMPUTE_PGM_RSRC2:USER_SGPR: 6
; COMPUTE_PGM_RSRC2:TRAP_HANDLER: 0
; COMPUTE_PGM_RSRC2:TGID_X_EN: 1
; COMPUTE_PGM_RSRC2:TGID_Y_EN: 1
; COMPUTE_PGM_RSRC2:TGID_Z_EN: 1
; COMPUTE_PGM_RSRC2:TIDIG_COMP_CNT: 0
	.text
	.p2align	2                               ; -- Begin function __ockl_printf_append_string_n
	.type	__ockl_printf_append_string_n,@function
__ockl_printf_append_string_n:          ; @__ockl_printf_append_string_n
; %bb.0:
	s_waitcnt vmcnt(0) expcnt(0) lgkmcnt(0)
	s_getpc_b64 s[4:5]
	s_add_u32 s4, s4, __FUNCTION__._ZL18flash_attn_ext_vecILi64ELi1EL9ggml_type2ELS0_8ELb1EEvPKcS2_S2_S2_S2_PKiPfP15HIP_vector_typeIfLj2EEffffjfiS6_IjLj3EEiiiiiiiiiiiliiliiiiil@rel32@lo+4
	s_addc_u32 s5, s5, __FUNCTION__._ZL18flash_attn_ext_vecILi64ELi1EL9ggml_type2ELS0_8ELb1EEvPKcS2_S2_S2_S2_PKiPfP15HIP_vector_typeIfLj2EEffffjfiS6_IjLj3EEiiiiiiiiiiiliiliiiiil@rel32@hi+12
	v_mov_b32_e32 v3, v0
	s_mov_b64 s[6:7], 0
	s_cmp_lg_u64 s[4:5], 0
	v_mbcnt_lo_u32_b32 v2, -1, 0
	s_cbranch_scc0 .LBB5_87
; %bb.1:
	s_load_dwordx2 s[10:11], s[8:9], 0x50
	s_getpc_b64 s[4:5]
	s_add_u32 s4, s4, __FUNCTION__._ZL18flash_attn_ext_vecILi64ELi1EL9ggml_type2ELS0_8ELb1EEvPKcS2_S2_S2_S2_PKiPfP15HIP_vector_typeIfLj2EEffffjfiS6_IjLj3EEiiiiiiiiiiiliiliiiiil@rel32@lo+4
	s_addc_u32 s5, s5, __FUNCTION__._ZL18flash_attn_ext_vecILi64ELi1EL9ggml_type2ELS0_8ELb1EEvPKcS2_S2_S2_S2_PKiPfP15HIP_vector_typeIfLj2EEffffjfiS6_IjLj3EEiiiiiiiiiiiliiliiiiil@rel32@hi+12
	v_and_b32_e32 v0, -3, v3
	v_mov_b32_e32 v32, s5
	v_mov_b32_e32 v7, v1
	v_and_b32_e32 v37, 2, v3
	s_mov_b32 s20, 0
	v_mov_b32_e32 v30, 0
	v_mbcnt_hi_u32_b32 v38, -1, v2
	v_mov_b32_e32 v31, s4
	s_movk_i32 s21, 0x1e0
	v_mov_b32_e32 v12, 2
	v_mov_b32_e32 v13, 1
	;; [unrolled: 1-line block ×3, first 2 shown]
	s_branch .LBB5_3
.LBB5_2:                                ;   in Loop: Header=BB5_3 Depth=1
	s_or_b64 exec, exec, s[14:15]
	v_sub_co_u32_e32 v4, vcc, v4, v33
	v_subb_co_u32_e32 v5, vcc, v5, v34, vcc
	v_cmp_eq_u64_e32 vcc, 0, v[4:5]
	s_or_b64 s[6:7], vcc, s[6:7]
	v_add_co_u32_e32 v31, vcc, v31, v33
	v_addc_co_u32_e32 v32, vcc, v32, v34, vcc
	s_andn2_b64 exec, exec, s[6:7]
	s_cbranch_execz .LBB5_85
.LBB5_3:                                ; =>This Loop Header: Depth=1
                                        ;     Child Loop BB5_6 Depth 2
                                        ;     Child Loop BB5_14 Depth 2
	;; [unrolled: 1-line block ×11, first 2 shown]
	v_cmp_gt_u64_e32 vcc, 56, v[4:5]
	v_add_co_u32_e64 v16, s[4:5], 8, v31
	v_cndmask_b32_e32 v34, 0, v5, vcc
	v_cndmask_b32_e32 v33, 56, v4, vcc
	v_cmp_gt_u64_e32 vcc, 8, v[4:5]
	v_addc_co_u32_e64 v17, s[4:5], 0, v32, s[4:5]
	s_and_saveexec_b64 s[4:5], vcc
	s_xor_b64 s[4:5], exec, s[4:5]
	s_cbranch_execz .LBB5_9
; %bb.4:                                ;   in Loop: Header=BB5_3 Depth=1
	v_mov_b32_e32 v8, 0
	v_cmp_ne_u64_e32 vcc, 0, v[4:5]
	v_mov_b32_e32 v9, 0
	s_and_saveexec_b64 s[12:13], vcc
	s_cbranch_execz .LBB5_8
; %bb.5:                                ;   in Loop: Header=BB5_3 Depth=1
	v_lshlrev_b64 v[10:11], 3, v[33:34]
	v_mov_b32_e32 v8, 0
	v_mov_b32_e32 v14, v31
	s_mov_b64 s[14:15], 0
	v_mov_b32_e32 v9, 0
	v_mov_b32_e32 v15, v32
	s_mov_b64 s[16:17], 0
.LBB5_6:                                ;   Parent Loop BB5_3 Depth=1
                                        ; =>  This Inner Loop Header: Depth=2
	global_load_ubyte v0, v[14:15], off
	v_mov_b32_e32 v17, s20
	v_add_co_u32_e32 v14, vcc, 1, v14
	v_addc_co_u32_e32 v15, vcc, 0, v15, vcc
	s_waitcnt vmcnt(0)
	v_and_b32_e32 v16, 0xffff, v0
	v_lshlrev_b64 v[16:17], s16, v[16:17]
	s_add_u32 s16, s16, 8
	s_addc_u32 s17, s17, 0
	v_cmp_eq_u32_e32 vcc, s16, v10
	v_or_b32_e32 v9, v17, v9
	s_or_b64 s[14:15], vcc, s[14:15]
	v_or_b32_e32 v8, v16, v8
	s_andn2_b64 exec, exec, s[14:15]
	s_cbranch_execnz .LBB5_6
; %bb.7:                                ;   in Loop: Header=BB5_3 Depth=1
	s_or_b64 exec, exec, s[14:15]
.LBB5_8:                                ;   in Loop: Header=BB5_3 Depth=1
	s_or_b64 exec, exec, s[12:13]
	v_mov_b32_e32 v16, v31
	v_mov_b32_e32 v17, v32
.LBB5_9:                                ;   in Loop: Header=BB5_3 Depth=1
	s_or_saveexec_b64 s[4:5], s[4:5]
	v_mov_b32_e32 v0, 0
	s_xor_b64 exec, exec, s[4:5]
	s_cbranch_execz .LBB5_11
; %bb.10:                               ;   in Loop: Header=BB5_3 Depth=1
	global_load_dwordx2 v[8:9], v[31:32], off
	v_add_u32_e32 v0, -8, v33
.LBB5_11:                               ;   in Loop: Header=BB5_3 Depth=1
	s_or_b64 exec, exec, s[4:5]
	v_add_co_u32_e64 v10, s[4:5], 8, v16
	v_cmp_gt_u32_e32 vcc, 8, v0
	v_addc_co_u32_e64 v11, s[4:5], 0, v17, s[4:5]
                                        ; implicit-def: $vgpr14_vgpr15
	s_and_saveexec_b64 s[4:5], vcc
	s_xor_b64 s[4:5], exec, s[4:5]
	s_cbranch_execz .LBB5_17
; %bb.12:                               ;   in Loop: Header=BB5_3 Depth=1
	v_mov_b32_e32 v14, 0
	v_mov_b32_e32 v15, 0
	v_cmp_ne_u32_e32 vcc, 0, v0
	s_and_saveexec_b64 s[12:13], vcc
	s_cbranch_execz .LBB5_16
; %bb.13:                               ;   in Loop: Header=BB5_3 Depth=1
	v_mov_b32_e32 v14, 0
	s_mov_b64 s[14:15], 0
	v_mov_b32_e32 v15, 0
	s_mov_b64 s[16:17], 0
	s_mov_b64 s[18:19], 0
.LBB5_14:                               ;   Parent Loop BB5_3 Depth=1
                                        ; =>  This Inner Loop Header: Depth=2
	v_mov_b32_e32 v11, s19
	v_add_co_u32_e32 v10, vcc, s18, v16
	v_addc_co_u32_e32 v11, vcc, v17, v11, vcc
	global_load_ubyte v10, v[10:11], off
	s_add_u32 s18, s18, 1
	v_mov_b32_e32 v11, s20
	s_addc_u32 s19, s19, 0
	v_cmp_eq_u32_e32 vcc, s18, v0
	s_waitcnt vmcnt(0)
	v_and_b32_e32 v10, 0xffff, v10
	v_lshlrev_b64 v[10:11], s16, v[10:11]
	s_add_u32 s16, s16, 8
	s_addc_u32 s17, s17, 0
	v_or_b32_e32 v15, v11, v15
	s_or_b64 s[14:15], vcc, s[14:15]
	v_or_b32_e32 v14, v10, v14
	s_andn2_b64 exec, exec, s[14:15]
	s_cbranch_execnz .LBB5_14
; %bb.15:                               ;   in Loop: Header=BB5_3 Depth=1
	s_or_b64 exec, exec, s[14:15]
.LBB5_16:                               ;   in Loop: Header=BB5_3 Depth=1
	s_or_b64 exec, exec, s[12:13]
	v_mov_b32_e32 v10, v16
	v_mov_b32_e32 v11, v17
                                        ; implicit-def: $vgpr0
.LBB5_17:                               ;   in Loop: Header=BB5_3 Depth=1
	s_or_saveexec_b64 s[4:5], s[4:5]
	v_mov_b32_e32 v18, 0
	s_xor_b64 exec, exec, s[4:5]
	s_cbranch_execz .LBB5_19
; %bb.18:                               ;   in Loop: Header=BB5_3 Depth=1
	global_load_dwordx2 v[14:15], v[16:17], off
	v_add_u32_e32 v18, -8, v0
.LBB5_19:                               ;   in Loop: Header=BB5_3 Depth=1
	s_or_b64 exec, exec, s[4:5]
	v_add_co_u32_e64 v20, s[4:5], 8, v10
	v_cmp_gt_u32_e32 vcc, 8, v18
	v_addc_co_u32_e64 v21, s[4:5], 0, v11, s[4:5]
	s_and_saveexec_b64 s[4:5], vcc
	s_xor_b64 s[4:5], exec, s[4:5]
	s_cbranch_execz .LBB5_25
; %bb.20:                               ;   in Loop: Header=BB5_3 Depth=1
	v_mov_b32_e32 v16, 0
	v_mov_b32_e32 v17, 0
	v_cmp_ne_u32_e32 vcc, 0, v18
	s_and_saveexec_b64 s[12:13], vcc
	s_cbranch_execz .LBB5_24
; %bb.21:                               ;   in Loop: Header=BB5_3 Depth=1
	v_mov_b32_e32 v16, 0
	s_mov_b64 s[14:15], 0
	v_mov_b32_e32 v17, 0
	s_mov_b64 s[16:17], 0
	s_mov_b64 s[18:19], 0
.LBB5_22:                               ;   Parent Loop BB5_3 Depth=1
                                        ; =>  This Inner Loop Header: Depth=2
	v_mov_b32_e32 v0, s19
	v_add_co_u32_e32 v19, vcc, s18, v10
	v_addc_co_u32_e32 v20, vcc, v11, v0, vcc
	global_load_ubyte v0, v[19:20], off
	s_add_u32 s18, s18, 1
	v_mov_b32_e32 v20, s20
	s_addc_u32 s19, s19, 0
	v_cmp_eq_u32_e32 vcc, s18, v18
	s_waitcnt vmcnt(0)
	v_and_b32_e32 v19, 0xffff, v0
	v_lshlrev_b64 v[19:20], s16, v[19:20]
	s_add_u32 s16, s16, 8
	s_addc_u32 s17, s17, 0
	v_or_b32_e32 v17, v20, v17
	s_or_b64 s[14:15], vcc, s[14:15]
	v_or_b32_e32 v16, v19, v16
	s_andn2_b64 exec, exec, s[14:15]
	s_cbranch_execnz .LBB5_22
; %bb.23:                               ;   in Loop: Header=BB5_3 Depth=1
	s_or_b64 exec, exec, s[14:15]
.LBB5_24:                               ;   in Loop: Header=BB5_3 Depth=1
	s_or_b64 exec, exec, s[12:13]
	v_mov_b32_e32 v21, v11
	v_mov_b32_e32 v20, v10
                                        ; implicit-def: $vgpr18
.LBB5_25:                               ;   in Loop: Header=BB5_3 Depth=1
	s_or_saveexec_b64 s[4:5], s[4:5]
	v_mov_b32_e32 v0, 0
	s_xor_b64 exec, exec, s[4:5]
	s_cbranch_execz .LBB5_27
; %bb.26:                               ;   in Loop: Header=BB5_3 Depth=1
	global_load_dwordx2 v[16:17], v[10:11], off
	v_add_u32_e32 v0, -8, v18
.LBB5_27:                               ;   in Loop: Header=BB5_3 Depth=1
	s_or_b64 exec, exec, s[4:5]
	v_add_co_u32_e64 v10, s[4:5], 8, v20
	v_cmp_gt_u32_e32 vcc, 8, v0
	v_addc_co_u32_e64 v11, s[4:5], 0, v21, s[4:5]
                                        ; implicit-def: $vgpr18_vgpr19
	s_and_saveexec_b64 s[4:5], vcc
	s_xor_b64 s[4:5], exec, s[4:5]
	s_cbranch_execz .LBB5_33
; %bb.28:                               ;   in Loop: Header=BB5_3 Depth=1
	v_mov_b32_e32 v18, 0
	v_mov_b32_e32 v19, 0
	v_cmp_ne_u32_e32 vcc, 0, v0
	s_and_saveexec_b64 s[12:13], vcc
	s_cbranch_execz .LBB5_32
; %bb.29:                               ;   in Loop: Header=BB5_3 Depth=1
	v_mov_b32_e32 v18, 0
	s_mov_b64 s[14:15], 0
	v_mov_b32_e32 v19, 0
	s_mov_b64 s[16:17], 0
	s_mov_b64 s[18:19], 0
.LBB5_30:                               ;   Parent Loop BB5_3 Depth=1
                                        ; =>  This Inner Loop Header: Depth=2
	v_mov_b32_e32 v11, s19
	v_add_co_u32_e32 v10, vcc, s18, v20
	v_addc_co_u32_e32 v11, vcc, v21, v11, vcc
	global_load_ubyte v10, v[10:11], off
	s_add_u32 s18, s18, 1
	v_mov_b32_e32 v11, s20
	s_addc_u32 s19, s19, 0
	v_cmp_eq_u32_e32 vcc, s18, v0
	s_waitcnt vmcnt(0)
	v_and_b32_e32 v10, 0xffff, v10
	v_lshlrev_b64 v[10:11], s16, v[10:11]
	s_add_u32 s16, s16, 8
	s_addc_u32 s17, s17, 0
	v_or_b32_e32 v19, v11, v19
	s_or_b64 s[14:15], vcc, s[14:15]
	v_or_b32_e32 v18, v10, v18
	s_andn2_b64 exec, exec, s[14:15]
	s_cbranch_execnz .LBB5_30
; %bb.31:                               ;   in Loop: Header=BB5_3 Depth=1
	s_or_b64 exec, exec, s[14:15]
.LBB5_32:                               ;   in Loop: Header=BB5_3 Depth=1
	s_or_b64 exec, exec, s[12:13]
	v_mov_b32_e32 v10, v20
	v_mov_b32_e32 v11, v21
                                        ; implicit-def: $vgpr0
.LBB5_33:                               ;   in Loop: Header=BB5_3 Depth=1
	s_or_saveexec_b64 s[4:5], s[4:5]
	v_mov_b32_e32 v22, 0
	s_xor_b64 exec, exec, s[4:5]
	s_cbranch_execz .LBB5_35
; %bb.34:                               ;   in Loop: Header=BB5_3 Depth=1
	global_load_dwordx2 v[18:19], v[20:21], off
	v_add_u32_e32 v22, -8, v0
.LBB5_35:                               ;   in Loop: Header=BB5_3 Depth=1
	s_or_b64 exec, exec, s[4:5]
	v_add_co_u32_e64 v24, s[4:5], 8, v10
	v_cmp_gt_u32_e32 vcc, 8, v22
	v_addc_co_u32_e64 v25, s[4:5], 0, v11, s[4:5]
	s_and_saveexec_b64 s[4:5], vcc
	s_xor_b64 s[4:5], exec, s[4:5]
	s_cbranch_execz .LBB5_41
; %bb.36:                               ;   in Loop: Header=BB5_3 Depth=1
	v_mov_b32_e32 v20, 0
	v_mov_b32_e32 v21, 0
	v_cmp_ne_u32_e32 vcc, 0, v22
	s_and_saveexec_b64 s[12:13], vcc
	s_cbranch_execz .LBB5_40
; %bb.37:                               ;   in Loop: Header=BB5_3 Depth=1
	v_mov_b32_e32 v20, 0
	s_mov_b64 s[14:15], 0
	v_mov_b32_e32 v21, 0
	s_mov_b64 s[16:17], 0
	s_mov_b64 s[18:19], 0
.LBB5_38:                               ;   Parent Loop BB5_3 Depth=1
                                        ; =>  This Inner Loop Header: Depth=2
	v_mov_b32_e32 v0, s19
	v_add_co_u32_e32 v23, vcc, s18, v10
	v_addc_co_u32_e32 v24, vcc, v11, v0, vcc
	global_load_ubyte v0, v[23:24], off
	s_add_u32 s18, s18, 1
	v_mov_b32_e32 v24, s20
	s_addc_u32 s19, s19, 0
	v_cmp_eq_u32_e32 vcc, s18, v22
	s_waitcnt vmcnt(0)
	v_and_b32_e32 v23, 0xffff, v0
	v_lshlrev_b64 v[23:24], s16, v[23:24]
	s_add_u32 s16, s16, 8
	s_addc_u32 s17, s17, 0
	v_or_b32_e32 v21, v24, v21
	s_or_b64 s[14:15], vcc, s[14:15]
	v_or_b32_e32 v20, v23, v20
	s_andn2_b64 exec, exec, s[14:15]
	s_cbranch_execnz .LBB5_38
; %bb.39:                               ;   in Loop: Header=BB5_3 Depth=1
	s_or_b64 exec, exec, s[14:15]
.LBB5_40:                               ;   in Loop: Header=BB5_3 Depth=1
	s_or_b64 exec, exec, s[12:13]
	v_mov_b32_e32 v25, v11
	v_mov_b32_e32 v24, v10
                                        ; implicit-def: $vgpr22
.LBB5_41:                               ;   in Loop: Header=BB5_3 Depth=1
	s_or_saveexec_b64 s[4:5], s[4:5]
	v_mov_b32_e32 v0, 0
	s_xor_b64 exec, exec, s[4:5]
	s_cbranch_execz .LBB5_43
; %bb.42:                               ;   in Loop: Header=BB5_3 Depth=1
	global_load_dwordx2 v[20:21], v[10:11], off
	v_add_u32_e32 v0, -8, v22
.LBB5_43:                               ;   in Loop: Header=BB5_3 Depth=1
	s_or_b64 exec, exec, s[4:5]
	v_add_co_u32_e64 v10, s[4:5], 8, v24
	v_cmp_gt_u32_e32 vcc, 8, v0
	v_addc_co_u32_e64 v11, s[4:5], 0, v25, s[4:5]
                                        ; implicit-def: $vgpr22_vgpr23
	s_and_saveexec_b64 s[4:5], vcc
	s_xor_b64 s[4:5], exec, s[4:5]
	s_cbranch_execz .LBB5_49
; %bb.44:                               ;   in Loop: Header=BB5_3 Depth=1
	v_mov_b32_e32 v22, 0
	v_mov_b32_e32 v23, 0
	v_cmp_ne_u32_e32 vcc, 0, v0
	s_and_saveexec_b64 s[12:13], vcc
	s_cbranch_execz .LBB5_48
; %bb.45:                               ;   in Loop: Header=BB5_3 Depth=1
	v_mov_b32_e32 v22, 0
	s_mov_b64 s[14:15], 0
	v_mov_b32_e32 v23, 0
	s_mov_b64 s[16:17], 0
	s_mov_b64 s[18:19], 0
.LBB5_46:                               ;   Parent Loop BB5_3 Depth=1
                                        ; =>  This Inner Loop Header: Depth=2
	v_mov_b32_e32 v11, s19
	v_add_co_u32_e32 v10, vcc, s18, v24
	v_addc_co_u32_e32 v11, vcc, v25, v11, vcc
	global_load_ubyte v10, v[10:11], off
	s_add_u32 s18, s18, 1
	v_mov_b32_e32 v11, s20
	s_addc_u32 s19, s19, 0
	v_cmp_eq_u32_e32 vcc, s18, v0
	s_waitcnt vmcnt(0)
	v_and_b32_e32 v10, 0xffff, v10
	v_lshlrev_b64 v[10:11], s16, v[10:11]
	s_add_u32 s16, s16, 8
	s_addc_u32 s17, s17, 0
	v_or_b32_e32 v23, v11, v23
	s_or_b64 s[14:15], vcc, s[14:15]
	v_or_b32_e32 v22, v10, v22
	s_andn2_b64 exec, exec, s[14:15]
	s_cbranch_execnz .LBB5_46
; %bb.47:                               ;   in Loop: Header=BB5_3 Depth=1
	s_or_b64 exec, exec, s[14:15]
.LBB5_48:                               ;   in Loop: Header=BB5_3 Depth=1
	s_or_b64 exec, exec, s[12:13]
	v_mov_b32_e32 v10, v24
	v_mov_b32_e32 v11, v25
                                        ; implicit-def: $vgpr0
.LBB5_49:                               ;   in Loop: Header=BB5_3 Depth=1
	s_or_saveexec_b64 s[4:5], s[4:5]
	v_mov_b32_e32 v26, 0
	s_xor_b64 exec, exec, s[4:5]
	s_cbranch_execz .LBB5_51
; %bb.50:                               ;   in Loop: Header=BB5_3 Depth=1
	global_load_dwordx2 v[22:23], v[24:25], off
	v_add_u32_e32 v26, -8, v0
.LBB5_51:                               ;   in Loop: Header=BB5_3 Depth=1
	s_or_b64 exec, exec, s[4:5]
	v_cmp_gt_u32_e32 vcc, 8, v26
	s_and_saveexec_b64 s[4:5], vcc
	s_xor_b64 s[4:5], exec, s[4:5]
	s_cbranch_execz .LBB5_57
; %bb.52:                               ;   in Loop: Header=BB5_3 Depth=1
	v_mov_b32_e32 v24, 0
	v_mov_b32_e32 v25, 0
	v_cmp_ne_u32_e32 vcc, 0, v26
	s_and_saveexec_b64 s[12:13], vcc
	s_cbranch_execz .LBB5_56
; %bb.53:                               ;   in Loop: Header=BB5_3 Depth=1
	v_mov_b32_e32 v24, 0
	s_mov_b64 s[14:15], 0
	v_mov_b32_e32 v25, 0
	s_mov_b64 s[16:17], 0
.LBB5_54:                               ;   Parent Loop BB5_3 Depth=1
                                        ; =>  This Inner Loop Header: Depth=2
	global_load_ubyte v0, v[10:11], off
	v_mov_b32_e32 v28, s20
	v_add_co_u32_e32 v10, vcc, 1, v10
	v_add_u32_e32 v26, -1, v26
	v_addc_co_u32_e32 v11, vcc, 0, v11, vcc
	v_cmp_eq_u32_e32 vcc, 0, v26
	s_waitcnt vmcnt(0)
	v_and_b32_e32 v27, 0xffff, v0
	v_lshlrev_b64 v[27:28], s16, v[27:28]
	s_add_u32 s16, s16, 8
	s_addc_u32 s17, s17, 0
	v_or_b32_e32 v25, v28, v25
	s_or_b64 s[14:15], vcc, s[14:15]
	v_or_b32_e32 v24, v27, v24
	s_andn2_b64 exec, exec, s[14:15]
	s_cbranch_execnz .LBB5_54
; %bb.55:                               ;   in Loop: Header=BB5_3 Depth=1
	s_or_b64 exec, exec, s[14:15]
.LBB5_56:                               ;   in Loop: Header=BB5_3 Depth=1
	s_or_b64 exec, exec, s[12:13]
                                        ; implicit-def: $vgpr10_vgpr11
.LBB5_57:                               ;   in Loop: Header=BB5_3 Depth=1
	s_andn2_saveexec_b64 s[4:5], s[4:5]
	s_cbranch_execz .LBB5_59
; %bb.58:                               ;   in Loop: Header=BB5_3 Depth=1
	global_load_dwordx2 v[24:25], v[10:11], off
.LBB5_59:                               ;   in Loop: Header=BB5_3 Depth=1
	s_or_b64 exec, exec, s[4:5]
	v_readfirstlane_b32 s4, v38
	v_mov_b32_e32 v10, 0
	v_mov_b32_e32 v11, 0
	v_cmp_eq_u32_e64 s[4:5], s4, v38
	s_and_saveexec_b64 s[12:13], s[4:5]
	s_cbranch_execz .LBB5_65
; %bb.60:                               ;   in Loop: Header=BB5_3 Depth=1
	s_waitcnt lgkmcnt(0)
	global_load_dwordx2 v[28:29], v30, s[10:11] offset:24 glc
	s_waitcnt vmcnt(0)
	buffer_wbinvl1_vol
	global_load_dwordx2 v[10:11], v30, s[10:11] offset:40
	global_load_dwordx2 v[26:27], v30, s[10:11]
	s_waitcnt vmcnt(1)
	v_and_b32_e32 v0, v10, v28
	v_and_b32_e32 v10, v11, v29
	v_mul_lo_u32 v10, v10, 24
	v_mul_hi_u32 v11, v0, 24
	v_mul_lo_u32 v0, v0, 24
	v_add_u32_e32 v11, v11, v10
	s_waitcnt vmcnt(0)
	v_add_co_u32_e32 v10, vcc, v26, v0
	v_addc_co_u32_e32 v11, vcc, v27, v11, vcc
	global_load_dwordx2 v[26:27], v[10:11], off glc
	s_waitcnt vmcnt(0)
	global_atomic_cmpswap_x2 v[10:11], v30, v[26:29], s[10:11] offset:24 glc
	s_waitcnt vmcnt(0)
	buffer_wbinvl1_vol
	v_cmp_ne_u64_e32 vcc, v[10:11], v[28:29]
	s_and_saveexec_b64 s[14:15], vcc
	s_cbranch_execz .LBB5_64
; %bb.61:                               ;   in Loop: Header=BB5_3 Depth=1
	s_mov_b64 s[16:17], 0
.LBB5_62:                               ;   Parent Loop BB5_3 Depth=1
                                        ; =>  This Inner Loop Header: Depth=2
	s_sleep 1
	global_load_dwordx2 v[26:27], v30, s[10:11] offset:40
	global_load_dwordx2 v[35:36], v30, s[10:11]
	v_mov_b32_e32 v29, v11
	v_mov_b32_e32 v28, v10
	s_waitcnt vmcnt(1)
	v_and_b32_e32 v0, v26, v28
	s_waitcnt vmcnt(0)
	v_mad_u64_u32 v[10:11], s[18:19], v0, 24, v[35:36]
	v_and_b32_e32 v26, v27, v29
	v_mov_b32_e32 v0, v11
	v_mad_u64_u32 v[26:27], s[18:19], v26, 24, v[0:1]
	v_mov_b32_e32 v11, v26
	global_load_dwordx2 v[26:27], v[10:11], off glc
	s_waitcnt vmcnt(0)
	global_atomic_cmpswap_x2 v[10:11], v30, v[26:29], s[10:11] offset:24 glc
	s_waitcnt vmcnt(0)
	buffer_wbinvl1_vol
	v_cmp_eq_u64_e32 vcc, v[10:11], v[28:29]
	s_or_b64 s[16:17], vcc, s[16:17]
	s_andn2_b64 exec, exec, s[16:17]
	s_cbranch_execnz .LBB5_62
; %bb.63:                               ;   in Loop: Header=BB5_3 Depth=1
	s_or_b64 exec, exec, s[16:17]
.LBB5_64:                               ;   in Loop: Header=BB5_3 Depth=1
	s_or_b64 exec, exec, s[14:15]
.LBB5_65:                               ;   in Loop: Header=BB5_3 Depth=1
	s_or_b64 exec, exec, s[12:13]
	s_waitcnt lgkmcnt(0)
	global_load_dwordx2 v[35:36], v30, s[10:11] offset:40
	global_load_dwordx4 v[26:29], v30, s[10:11]
	v_readfirstlane_b32 s13, v11
	v_readfirstlane_b32 s12, v10
	s_mov_b64 s[14:15], exec
	s_waitcnt vmcnt(1)
	v_readfirstlane_b32 s16, v35
	v_readfirstlane_b32 s17, v36
	s_and_b64 s[16:17], s[16:17], s[12:13]
	s_mul_i32 s18, s17, 24
	s_mul_hi_u32 s19, s16, 24
	s_mul_i32 s22, s16, 24
	s_add_i32 s18, s19, s18
	v_mov_b32_e32 v0, s18
	s_waitcnt vmcnt(0)
	v_add_co_u32_e32 v35, vcc, s22, v26
	v_addc_co_u32_e32 v36, vcc, v27, v0, vcc
	s_and_saveexec_b64 s[18:19], s[4:5]
	s_cbranch_execz .LBB5_67
; %bb.66:                               ;   in Loop: Header=BB5_3 Depth=1
	v_mov_b32_e32 v10, s14
	v_mov_b32_e32 v11, s15
	global_store_dwordx4 v[35:36], v[10:13], off offset:8
.LBB5_67:                               ;   in Loop: Header=BB5_3 Depth=1
	s_or_b64 exec, exec, s[18:19]
	s_lshl_b64 s[14:15], s[16:17], 12
	v_mov_b32_e32 v10, s15
	v_add_co_u32_e32 v0, vcc, s14, v28
	v_addc_co_u32_e32 v28, vcc, v29, v10, vcc
	v_cmp_gt_u64_e32 vcc, 57, v[4:5]
	v_and_b32_e32 v6, 0xffffff1f, v6
	v_cndmask_b32_e32 v10, 0, v37, vcc
	v_lshl_add_u32 v11, v33, 2, 28
	v_or_b32_e32 v6, v6, v10
	v_and_or_b32 v6, v11, s21, v6
	v_lshlrev_b32_e32 v39, 6, v38
	v_readfirstlane_b32 s14, v0
	v_readfirstlane_b32 s15, v28
	s_nop 4
	global_store_dwordx4 v39, v[6:9], s[14:15]
	global_store_dwordx4 v39, v[14:17], s[14:15] offset:16
	global_store_dwordx4 v39, v[18:21], s[14:15] offset:32
	;; [unrolled: 1-line block ×3, first 2 shown]
	s_and_saveexec_b64 s[14:15], s[4:5]
	s_cbranch_execz .LBB5_75
; %bb.68:                               ;   in Loop: Header=BB5_3 Depth=1
	global_load_dwordx2 v[16:17], v30, s[10:11] offset:32 glc
	global_load_dwordx2 v[6:7], v30, s[10:11] offset:40
	v_mov_b32_e32 v14, s12
	v_mov_b32_e32 v15, s13
	s_waitcnt vmcnt(0)
	v_readfirstlane_b32 s16, v6
	v_readfirstlane_b32 s17, v7
	s_and_b64 s[16:17], s[16:17], s[12:13]
	s_mul_i32 s17, s17, 24
	s_mul_hi_u32 s18, s16, 24
	s_mul_i32 s16, s16, 24
	s_add_i32 s17, s18, s17
	v_mov_b32_e32 v6, s17
	v_add_co_u32_e32 v10, vcc, s16, v26
	v_addc_co_u32_e32 v11, vcc, v27, v6, vcc
	global_store_dwordx2 v[10:11], v[16:17], off
	s_waitcnt vmcnt(0)
	global_atomic_cmpswap_x2 v[8:9], v30, v[14:17], s[10:11] offset:32 glc
	s_waitcnt vmcnt(0)
	v_cmp_ne_u64_e32 vcc, v[8:9], v[16:17]
	s_and_saveexec_b64 s[16:17], vcc
	s_cbranch_execz .LBB5_71
; %bb.69:                               ;   in Loop: Header=BB5_3 Depth=1
	s_mov_b64 s[18:19], 0
.LBB5_70:                               ;   Parent Loop BB5_3 Depth=1
                                        ; =>  This Inner Loop Header: Depth=2
	s_sleep 1
	global_store_dwordx2 v[10:11], v[8:9], off
	v_mov_b32_e32 v6, s12
	v_mov_b32_e32 v7, s13
	s_waitcnt vmcnt(0)
	global_atomic_cmpswap_x2 v[6:7], v30, v[6:9], s[10:11] offset:32 glc
	s_waitcnt vmcnt(0)
	v_cmp_eq_u64_e32 vcc, v[6:7], v[8:9]
	v_mov_b32_e32 v9, v7
	s_or_b64 s[18:19], vcc, s[18:19]
	v_mov_b32_e32 v8, v6
	s_andn2_b64 exec, exec, s[18:19]
	s_cbranch_execnz .LBB5_70
.LBB5_71:                               ;   in Loop: Header=BB5_3 Depth=1
	s_or_b64 exec, exec, s[16:17]
	global_load_dwordx2 v[6:7], v30, s[10:11] offset:16
	s_mov_b64 s[18:19], exec
	v_mbcnt_lo_u32_b32 v8, s18, 0
	v_mbcnt_hi_u32_b32 v8, s19, v8
	v_cmp_eq_u32_e32 vcc, 0, v8
	s_and_saveexec_b64 s[16:17], vcc
	s_cbranch_execz .LBB5_73
; %bb.72:                               ;   in Loop: Header=BB5_3 Depth=1
	s_bcnt1_i32_b64 s18, s[18:19]
	v_mov_b32_e32 v29, s18
	s_waitcnt vmcnt(0)
	global_atomic_add_x2 v[6:7], v[29:30], off offset:8
.LBB5_73:                               ;   in Loop: Header=BB5_3 Depth=1
	s_or_b64 exec, exec, s[16:17]
	s_waitcnt vmcnt(0)
	global_load_dwordx2 v[8:9], v[6:7], off offset:16
	s_waitcnt vmcnt(0)
	v_cmp_eq_u64_e32 vcc, 0, v[8:9]
	s_cbranch_vccnz .LBB5_75
; %bb.74:                               ;   in Loop: Header=BB5_3 Depth=1
	global_load_dword v29, v[6:7], off offset:24
	s_waitcnt vmcnt(0)
	v_readfirstlane_b32 s16, v29
	s_and_b32 m0, s16, 0xffffff
	global_store_dwordx2 v[8:9], v[29:30], off
	s_sendmsg sendmsg(MSG_INTERRUPT)
.LBB5_75:                               ;   in Loop: Header=BB5_3 Depth=1
	s_or_b64 exec, exec, s[14:15]
	v_add_co_u32_e32 v6, vcc, v0, v39
	v_addc_co_u32_e32 v7, vcc, 0, v28, vcc
	s_branch .LBB5_79
.LBB5_76:                               ;   in Loop: Header=BB5_79 Depth=2
	s_or_b64 exec, exec, s[14:15]
	v_readfirstlane_b32 s14, v0
	s_cmp_eq_u32 s14, 0
	s_cbranch_scc1 .LBB5_78
; %bb.77:                               ;   in Loop: Header=BB5_79 Depth=2
	s_sleep 1
	s_cbranch_execnz .LBB5_79
	s_branch .LBB5_81
.LBB5_78:                               ;   in Loop: Header=BB5_3 Depth=1
	s_branch .LBB5_81
.LBB5_79:                               ;   Parent Loop BB5_3 Depth=1
                                        ; =>  This Inner Loop Header: Depth=2
	v_mov_b32_e32 v0, 1
	s_and_saveexec_b64 s[14:15], s[4:5]
	s_cbranch_execz .LBB5_76
; %bb.80:                               ;   in Loop: Header=BB5_79 Depth=2
	global_load_dword v0, v[35:36], off offset:20 glc
	s_waitcnt vmcnt(0)
	buffer_wbinvl1_vol
	v_and_b32_e32 v0, 1, v0
	s_branch .LBB5_76
.LBB5_81:                               ;   in Loop: Header=BB5_3 Depth=1
	global_load_dwordx2 v[6:7], v[6:7], off
	s_and_saveexec_b64 s[14:15], s[4:5]
	s_cbranch_execz .LBB5_2
; %bb.82:                               ;   in Loop: Header=BB5_3 Depth=1
	global_load_dwordx2 v[8:9], v30, s[10:11] offset:40
	global_load_dwordx2 v[18:19], v30, s[10:11] offset:24 glc
	global_load_dwordx2 v[10:11], v30, s[10:11]
	s_waitcnt vmcnt(2)
	v_readfirstlane_b32 s16, v8
	v_readfirstlane_b32 s17, v9
	s_add_u32 s18, s16, 1
	s_addc_u32 s19, s17, 0
	s_add_u32 s4, s18, s12
	s_addc_u32 s5, s19, s13
	s_cmp_eq_u64 s[4:5], 0
	s_cselect_b32 s5, s19, s5
	s_cselect_b32 s4, s18, s4
	s_and_b64 s[12:13], s[4:5], s[16:17]
	s_mul_i32 s13, s13, 24
	s_mul_hi_u32 s16, s12, 24
	s_mul_i32 s12, s12, 24
	s_add_i32 s13, s16, s13
	v_mov_b32_e32 v0, s13
	s_waitcnt vmcnt(0)
	v_add_co_u32_e32 v14, vcc, s12, v10
	v_addc_co_u32_e32 v15, vcc, v11, v0, vcc
	v_mov_b32_e32 v16, s4
	global_store_dwordx2 v[14:15], v[18:19], off
	v_mov_b32_e32 v17, s5
	s_waitcnt vmcnt(0)
	global_atomic_cmpswap_x2 v[10:11], v30, v[16:19], s[10:11] offset:24 glc
	s_waitcnt vmcnt(0)
	v_cmp_ne_u64_e32 vcc, v[10:11], v[18:19]
	s_and_b64 exec, exec, vcc
	s_cbranch_execz .LBB5_2
; %bb.83:                               ;   in Loop: Header=BB5_3 Depth=1
	s_mov_b64 s[12:13], 0
.LBB5_84:                               ;   Parent Loop BB5_3 Depth=1
                                        ; =>  This Inner Loop Header: Depth=2
	s_sleep 1
	global_store_dwordx2 v[14:15], v[10:11], off
	v_mov_b32_e32 v8, s4
	v_mov_b32_e32 v9, s5
	s_waitcnt vmcnt(0)
	global_atomic_cmpswap_x2 v[8:9], v30, v[8:11], s[10:11] offset:24 glc
	s_waitcnt vmcnt(0)
	v_cmp_eq_u64_e32 vcc, v[8:9], v[10:11]
	v_mov_b32_e32 v11, v9
	s_or_b64 s[12:13], vcc, s[12:13]
	v_mov_b32_e32 v10, v8
	s_andn2_b64 exec, exec, s[12:13]
	s_cbranch_execnz .LBB5_84
	s_branch .LBB5_2
.LBB5_85:
	s_or_b64 exec, exec, s[6:7]
.LBB5_86:
	s_waitcnt vmcnt(0)
	v_mov_b32_e32 v0, v6
	v_mov_b32_e32 v1, v7
	s_waitcnt lgkmcnt(0)
	s_setpc_b64 s[30:31]
.LBB5_87:
                                        ; implicit-def: $vgpr6_vgpr7
	s_cbranch_execz .LBB5_86
; %bb.88:
	s_load_dwordx2 s[6:7], s[8:9], 0x50
	v_mbcnt_hi_u32_b32 v10, -1, v2
	v_readfirstlane_b32 s4, v10
	v_mov_b32_e32 v8, 0
	v_mov_b32_e32 v9, 0
	v_cmp_eq_u32_e64 s[4:5], s4, v10
	s_and_saveexec_b64 s[8:9], s[4:5]
	s_cbranch_execz .LBB5_94
; %bb.89:
	v_mov_b32_e32 v0, 0
	s_waitcnt lgkmcnt(0)
	global_load_dwordx2 v[6:7], v0, s[6:7] offset:24 glc
	s_waitcnt vmcnt(0)
	buffer_wbinvl1_vol
	global_load_dwordx2 v[4:5], v0, s[6:7] offset:40
	global_load_dwordx2 v[8:9], v0, s[6:7]
	s_waitcnt vmcnt(1)
	v_and_b32_e32 v2, v4, v6
	v_and_b32_e32 v4, v5, v7
	v_mul_lo_u32 v4, v4, 24
	v_mul_hi_u32 v5, v2, 24
	v_mul_lo_u32 v2, v2, 24
	v_add_u32_e32 v5, v5, v4
	s_waitcnt vmcnt(0)
	v_add_co_u32_e32 v4, vcc, v8, v2
	v_addc_co_u32_e32 v5, vcc, v9, v5, vcc
	global_load_dwordx2 v[4:5], v[4:5], off glc
	s_waitcnt vmcnt(0)
	global_atomic_cmpswap_x2 v[8:9], v0, v[4:7], s[6:7] offset:24 glc
	s_waitcnt vmcnt(0)
	buffer_wbinvl1_vol
	v_cmp_ne_u64_e32 vcc, v[8:9], v[6:7]
	s_and_saveexec_b64 s[10:11], vcc
	s_cbranch_execz .LBB5_93
; %bb.90:
	s_mov_b64 s[12:13], 0
.LBB5_91:                               ; =>This Inner Loop Header: Depth=1
	s_sleep 1
	global_load_dwordx2 v[4:5], v0, s[6:7] offset:40
	global_load_dwordx2 v[11:12], v0, s[6:7]
	v_mov_b32_e32 v6, v8
	v_mov_b32_e32 v7, v9
	s_waitcnt vmcnt(1)
	v_and_b32_e32 v2, v4, v6
	s_waitcnt vmcnt(0)
	v_mad_u64_u32 v[8:9], s[14:15], v2, 24, v[11:12]
	v_and_b32_e32 v4, v5, v7
	v_mov_b32_e32 v2, v9
	v_mad_u64_u32 v[4:5], s[14:15], v4, 24, v[2:3]
	v_mov_b32_e32 v9, v4
	global_load_dwordx2 v[4:5], v[8:9], off glc
	s_waitcnt vmcnt(0)
	global_atomic_cmpswap_x2 v[8:9], v0, v[4:7], s[6:7] offset:24 glc
	s_waitcnt vmcnt(0)
	buffer_wbinvl1_vol
	v_cmp_eq_u64_e32 vcc, v[8:9], v[6:7]
	s_or_b64 s[12:13], vcc, s[12:13]
	s_andn2_b64 exec, exec, s[12:13]
	s_cbranch_execnz .LBB5_91
; %bb.92:
	s_or_b64 exec, exec, s[12:13]
.LBB5_93:
	s_or_b64 exec, exec, s[10:11]
.LBB5_94:
	s_or_b64 exec, exec, s[8:9]
	v_mov_b32_e32 v2, 0
	s_waitcnt lgkmcnt(0)
	global_load_dwordx2 v[11:12], v2, s[6:7] offset:40
	global_load_dwordx4 v[4:7], v2, s[6:7]
	v_readfirstlane_b32 s9, v9
	v_readfirstlane_b32 s8, v8
	s_mov_b64 s[10:11], exec
	s_waitcnt vmcnt(1)
	v_readfirstlane_b32 s12, v11
	v_readfirstlane_b32 s13, v12
	s_and_b64 s[12:13], s[12:13], s[8:9]
	s_mul_i32 s14, s13, 24
	s_mul_hi_u32 s15, s12, 24
	s_mul_i32 s16, s12, 24
	s_add_i32 s14, s15, s14
	v_mov_b32_e32 v0, s14
	s_waitcnt vmcnt(0)
	v_add_co_u32_e32 v8, vcc, s16, v4
	v_addc_co_u32_e32 v9, vcc, v5, v0, vcc
	s_and_saveexec_b64 s[14:15], s[4:5]
	s_cbranch_execz .LBB5_96
; %bb.95:
	v_mov_b32_e32 v12, s11
	v_mov_b32_e32 v11, s10
	;; [unrolled: 1-line block ×4, first 2 shown]
	global_store_dwordx4 v[8:9], v[11:14], off offset:8
.LBB5_96:
	s_or_b64 exec, exec, s[14:15]
	s_lshl_b64 s[10:11], s[12:13], 12
	v_mov_b32_e32 v0, s11
	v_add_co_u32_e32 v11, vcc, s10, v6
	v_addc_co_u32_e32 v12, vcc, v7, v0, vcc
	s_movk_i32 s10, 0xff1f
	v_and_or_b32 v0, v3, s10, 32
	v_lshlrev_b32_e32 v10, 6, v10
	s_mov_b32 s12, 0
	v_mov_b32_e32 v3, v2
	v_readfirstlane_b32 s10, v11
	v_readfirstlane_b32 s11, v12
	v_add_co_u32_e32 v6, vcc, v11, v10
	s_mov_b32 s13, s12
	s_mov_b32 s14, s12
	;; [unrolled: 1-line block ×3, first 2 shown]
	s_nop 0
	global_store_dwordx4 v10, v[0:3], s[10:11]
	v_addc_co_u32_e32 v7, vcc, 0, v12, vcc
	v_mov_b32_e32 v0, s12
	v_mov_b32_e32 v1, s13
	;; [unrolled: 1-line block ×4, first 2 shown]
	global_store_dwordx4 v10, v[0:3], s[10:11] offset:16
	global_store_dwordx4 v10, v[0:3], s[10:11] offset:32
	;; [unrolled: 1-line block ×3, first 2 shown]
	s_and_saveexec_b64 s[10:11], s[4:5]
	s_cbranch_execz .LBB5_104
; %bb.97:
	v_mov_b32_e32 v10, 0
	global_load_dwordx2 v[13:14], v10, s[6:7] offset:32 glc
	global_load_dwordx2 v[0:1], v10, s[6:7] offset:40
	v_mov_b32_e32 v11, s8
	v_mov_b32_e32 v12, s9
	s_waitcnt vmcnt(0)
	v_and_b32_e32 v0, s8, v0
	v_and_b32_e32 v1, s9, v1
	v_mul_lo_u32 v1, v1, 24
	v_mul_hi_u32 v2, v0, 24
	v_mul_lo_u32 v0, v0, 24
	v_add_u32_e32 v1, v2, v1
	v_add_co_u32_e32 v4, vcc, v4, v0
	v_addc_co_u32_e32 v5, vcc, v5, v1, vcc
	global_store_dwordx2 v[4:5], v[13:14], off
	s_waitcnt vmcnt(0)
	global_atomic_cmpswap_x2 v[2:3], v10, v[11:14], s[6:7] offset:32 glc
	s_waitcnt vmcnt(0)
	v_cmp_ne_u64_e32 vcc, v[2:3], v[13:14]
	s_and_saveexec_b64 s[12:13], vcc
	s_cbranch_execz .LBB5_100
; %bb.98:
	s_mov_b64 s[14:15], 0
.LBB5_99:                               ; =>This Inner Loop Header: Depth=1
	s_sleep 1
	global_store_dwordx2 v[4:5], v[2:3], off
	v_mov_b32_e32 v0, s8
	v_mov_b32_e32 v1, s9
	s_waitcnt vmcnt(0)
	global_atomic_cmpswap_x2 v[0:1], v10, v[0:3], s[6:7] offset:32 glc
	s_waitcnt vmcnt(0)
	v_cmp_eq_u64_e32 vcc, v[0:1], v[2:3]
	v_mov_b32_e32 v3, v1
	s_or_b64 s[14:15], vcc, s[14:15]
	v_mov_b32_e32 v2, v0
	s_andn2_b64 exec, exec, s[14:15]
	s_cbranch_execnz .LBB5_99
.LBB5_100:
	s_or_b64 exec, exec, s[12:13]
	v_mov_b32_e32 v3, 0
	global_load_dwordx2 v[0:1], v3, s[6:7] offset:16
	s_mov_b64 s[12:13], exec
	v_mbcnt_lo_u32_b32 v2, s12, 0
	v_mbcnt_hi_u32_b32 v2, s13, v2
	v_cmp_eq_u32_e32 vcc, 0, v2
	s_and_saveexec_b64 s[14:15], vcc
	s_cbranch_execz .LBB5_102
; %bb.101:
	s_bcnt1_i32_b64 s12, s[12:13]
	v_mov_b32_e32 v2, s12
	s_waitcnt vmcnt(0)
	global_atomic_add_x2 v[0:1], v[2:3], off offset:8
.LBB5_102:
	s_or_b64 exec, exec, s[14:15]
	s_waitcnt vmcnt(0)
	global_load_dwordx2 v[2:3], v[0:1], off offset:16
	s_waitcnt vmcnt(0)
	v_cmp_eq_u64_e32 vcc, 0, v[2:3]
	s_cbranch_vccnz .LBB5_104
; %bb.103:
	global_load_dword v0, v[0:1], off offset:24
	v_mov_b32_e32 v1, 0
	s_waitcnt vmcnt(0)
	v_readfirstlane_b32 s12, v0
	s_and_b32 m0, s12, 0xffffff
	global_store_dwordx2 v[2:3], v[0:1], off
	s_sendmsg sendmsg(MSG_INTERRUPT)
.LBB5_104:
	s_or_b64 exec, exec, s[10:11]
	s_branch .LBB5_108
.LBB5_105:                              ;   in Loop: Header=BB5_108 Depth=1
	s_or_b64 exec, exec, s[10:11]
	v_readfirstlane_b32 s10, v0
	s_cmp_eq_u32 s10, 0
	s_cbranch_scc1 .LBB5_107
; %bb.106:                              ;   in Loop: Header=BB5_108 Depth=1
	s_sleep 1
	s_cbranch_execnz .LBB5_108
	s_branch .LBB5_110
.LBB5_107:
	s_branch .LBB5_110
.LBB5_108:                              ; =>This Inner Loop Header: Depth=1
	v_mov_b32_e32 v0, 1
	s_and_saveexec_b64 s[10:11], s[4:5]
	s_cbranch_execz .LBB5_105
; %bb.109:                              ;   in Loop: Header=BB5_108 Depth=1
	global_load_dword v0, v[8:9], off offset:20 glc
	s_waitcnt vmcnt(0)
	buffer_wbinvl1_vol
	v_and_b32_e32 v0, 1, v0
	s_branch .LBB5_105
.LBB5_110:
	global_load_dwordx2 v[6:7], v[6:7], off
	s_and_saveexec_b64 s[10:11], s[4:5]
	s_cbranch_execz .LBB5_113
; %bb.111:
	v_mov_b32_e32 v8, 0
	global_load_dwordx2 v[0:1], v8, s[6:7] offset:40
	global_load_dwordx2 v[11:12], v8, s[6:7] offset:24 glc
	global_load_dwordx2 v[2:3], v8, s[6:7]
	s_waitcnt vmcnt(2)
	v_readfirstlane_b32 s12, v0
	v_readfirstlane_b32 s13, v1
	s_add_u32 s14, s12, 1
	s_addc_u32 s15, s13, 0
	s_add_u32 s4, s14, s8
	s_addc_u32 s5, s15, s9
	s_cmp_eq_u64 s[4:5], 0
	s_cselect_b32 s5, s15, s5
	s_cselect_b32 s4, s14, s4
	s_and_b64 s[8:9], s[4:5], s[12:13]
	s_mul_i32 s9, s9, 24
	s_mul_hi_u32 s12, s8, 24
	s_mul_i32 s8, s8, 24
	s_add_i32 s9, s12, s9
	v_mov_b32_e32 v0, s9
	s_waitcnt vmcnt(0)
	v_add_co_u32_e32 v4, vcc, s8, v2
	v_addc_co_u32_e32 v5, vcc, v3, v0, vcc
	v_mov_b32_e32 v9, s4
	global_store_dwordx2 v[4:5], v[11:12], off
	v_mov_b32_e32 v10, s5
	s_waitcnt vmcnt(0)
	global_atomic_cmpswap_x2 v[2:3], v8, v[9:12], s[6:7] offset:24 glc
	s_mov_b64 s[8:9], 0
	s_waitcnt vmcnt(0)
	v_cmp_ne_u64_e32 vcc, v[2:3], v[11:12]
	s_and_b64 exec, exec, vcc
	s_cbranch_execz .LBB5_113
.LBB5_112:                              ; =>This Inner Loop Header: Depth=1
	s_sleep 1
	global_store_dwordx2 v[4:5], v[2:3], off
	v_mov_b32_e32 v0, s4
	v_mov_b32_e32 v1, s5
	s_waitcnt vmcnt(0)
	global_atomic_cmpswap_x2 v[0:1], v8, v[0:3], s[6:7] offset:24 glc
	s_waitcnt vmcnt(0)
	v_cmp_eq_u64_e32 vcc, v[0:1], v[2:3]
	v_mov_b32_e32 v3, v1
	s_or_b64 s[8:9], vcc, s[8:9]
	v_mov_b32_e32 v2, v0
	s_andn2_b64 exec, exec, s[8:9]
	s_cbranch_execnz .LBB5_112
.LBB5_113:
	s_or_b64 exec, exec, s[10:11]
	s_waitcnt vmcnt(0)
	v_mov_b32_e32 v0, v6
	v_mov_b32_e32 v1, v7
	s_waitcnt lgkmcnt(0)
	s_setpc_b64 s[30:31]
.Lfunc_end5:
	.size	__ockl_printf_append_string_n, .Lfunc_end5-__ockl_printf_append_string_n
                                        ; -- End function
	.set .L__ockl_printf_append_string_n.num_vgpr, 40
	.set .L__ockl_printf_append_string_n.num_agpr, 0
	.set .L__ockl_printf_append_string_n.numbered_sgpr, 32
	.set .L__ockl_printf_append_string_n.num_named_barrier, 0
	.set .L__ockl_printf_append_string_n.private_seg_size, 0
	.set .L__ockl_printf_append_string_n.uses_vcc, 1
	.set .L__ockl_printf_append_string_n.uses_flat_scratch, 0
	.set .L__ockl_printf_append_string_n.has_dyn_sized_stack, 0
	.set .L__ockl_printf_append_string_n.has_recursion, 0
	.set .L__ockl_printf_append_string_n.has_indirect_call, 0
	.section	.AMDGPU.csdata,"",@progbits
; Function info:
; codeLenInByte = 3920
; TotalNumSgprs: 36
; NumVgprs: 40
; ScratchSize: 0
; MemoryBound: 0
	.text
	.p2align	2                               ; -- Begin function __ockl_printf_append_args
	.type	__ockl_printf_append_args,@function
__ockl_printf_append_args:              ; @__ockl_printf_append_args
; %bb.0:
	s_waitcnt vmcnt(0) expcnt(0) lgkmcnt(0)
	s_load_dwordx2 s[6:7], s[8:9], 0x50
	v_mbcnt_lo_u32_b32 v5, -1, 0
	v_mbcnt_hi_u32_b32 v11, -1, v5
	v_readfirstlane_b32 s4, v11
	v_mov_b32_e32 v9, 0
	v_mov_b32_e32 v10, 0
	v_cmp_eq_u32_e64 s[4:5], s4, v11
	s_and_saveexec_b64 s[8:9], s[4:5]
	s_cbranch_execz .LBB6_6
; %bb.1:
	v_mov_b32_e32 v5, 0
	s_waitcnt lgkmcnt(0)
	global_load_dwordx2 v[14:15], v5, s[6:7] offset:24 glc
	s_waitcnt vmcnt(0)
	buffer_wbinvl1_vol
	global_load_dwordx2 v[6:7], v5, s[6:7] offset:40
	global_load_dwordx2 v[8:9], v5, s[6:7]
	s_waitcnt vmcnt(1)
	v_and_b32_e32 v6, v6, v14
	v_and_b32_e32 v7, v7, v15
	v_mul_lo_u32 v7, v7, 24
	v_mul_hi_u32 v10, v6, 24
	v_mul_lo_u32 v6, v6, 24
	v_add_u32_e32 v7, v10, v7
	s_waitcnt vmcnt(0)
	v_add_co_u32_e32 v6, vcc, v8, v6
	v_addc_co_u32_e32 v7, vcc, v9, v7, vcc
	global_load_dwordx2 v[12:13], v[6:7], off glc
	s_waitcnt vmcnt(0)
	global_atomic_cmpswap_x2 v[9:10], v5, v[12:15], s[6:7] offset:24 glc
	s_waitcnt vmcnt(0)
	buffer_wbinvl1_vol
	v_cmp_ne_u64_e32 vcc, v[9:10], v[14:15]
	s_and_saveexec_b64 s[10:11], vcc
	s_cbranch_execz .LBB6_5
; %bb.2:
	s_mov_b64 s[12:13], 0
.LBB6_3:                                ; =>This Inner Loop Header: Depth=1
	s_sleep 1
	global_load_dwordx2 v[6:7], v5, s[6:7] offset:40
	global_load_dwordx2 v[12:13], v5, s[6:7]
	v_mov_b32_e32 v15, v10
	v_mov_b32_e32 v14, v9
	s_waitcnt vmcnt(1)
	v_and_b32_e32 v6, v6, v14
	s_waitcnt vmcnt(0)
	v_mad_u64_u32 v[8:9], s[14:15], v6, 24, v[12:13]
	v_and_b32_e32 v7, v7, v15
	v_mov_b32_e32 v6, v9
	v_mad_u64_u32 v[6:7], s[14:15], v7, 24, v[6:7]
	v_mov_b32_e32 v9, v6
	global_load_dwordx2 v[12:13], v[8:9], off glc
	s_waitcnt vmcnt(0)
	global_atomic_cmpswap_x2 v[9:10], v5, v[12:15], s[6:7] offset:24 glc
	s_waitcnt vmcnt(0)
	buffer_wbinvl1_vol
	v_cmp_eq_u64_e32 vcc, v[9:10], v[14:15]
	s_or_b64 s[12:13], vcc, s[12:13]
	s_andn2_b64 exec, exec, s[12:13]
	s_cbranch_execnz .LBB6_3
; %bb.4:
	s_or_b64 exec, exec, s[12:13]
.LBB6_5:
	s_or_b64 exec, exec, s[10:11]
.LBB6_6:
	s_or_b64 exec, exec, s[8:9]
	v_mov_b32_e32 v14, 0
	s_waitcnt lgkmcnt(0)
	global_load_dwordx2 v[12:13], v14, s[6:7] offset:40
	global_load_dwordx4 v[5:8], v14, s[6:7]
	v_readfirstlane_b32 s9, v10
	v_readfirstlane_b32 s8, v9
	s_mov_b64 s[10:11], exec
	s_waitcnt vmcnt(1)
	v_readfirstlane_b32 s12, v12
	v_readfirstlane_b32 s13, v13
	s_and_b64 s[12:13], s[12:13], s[8:9]
	s_mul_i32 s14, s13, 24
	s_mul_hi_u32 s15, s12, 24
	s_mul_i32 s16, s12, 24
	s_add_i32 s14, s15, s14
	v_mov_b32_e32 v10, s14
	s_waitcnt vmcnt(0)
	v_add_co_u32_e32 v9, vcc, s16, v5
	v_addc_co_u32_e32 v10, vcc, v6, v10, vcc
	s_and_saveexec_b64 s[14:15], s[4:5]
	s_cbranch_execz .LBB6_8
; %bb.7:
	v_mov_b32_e32 v13, s11
	v_mov_b32_e32 v12, s10
	;; [unrolled: 1-line block ×4, first 2 shown]
	global_store_dwordx4 v[9:10], v[12:15], off offset:8
.LBB6_8:
	s_or_b64 exec, exec, s[14:15]
	s_lshl_b64 s[10:11], s[12:13], 12
	v_mov_b32_e32 v12, s11
	v_add_co_u32_e32 v7, vcc, s10, v7
	v_addc_co_u32_e32 v8, vcc, v8, v12, vcc
	v_or_b32_e32 v12, 2, v0
	v_cmp_eq_u32_e32 vcc, 0, v4
	v_cndmask_b32_e32 v0, v12, v0, vcc
	s_movk_i32 s10, 0xff1f
	s_mov_b32 s12, 0
	v_and_or_b32 v0, v0, s10, 32
	v_lshlrev_b32_e32 v4, 6, v11
	v_readfirstlane_b32 s10, v7
	v_readfirstlane_b32 s11, v8
	s_mov_b32 s13, s12
	s_mov_b32 s14, s12
	;; [unrolled: 1-line block ×3, first 2 shown]
	s_nop 1
	global_store_dwordx4 v4, v[0:3], s[10:11]
	s_nop 0
	v_mov_b32_e32 v0, s12
	v_mov_b32_e32 v1, s13
	;; [unrolled: 1-line block ×4, first 2 shown]
	global_store_dwordx4 v4, v[0:3], s[10:11] offset:16
	global_store_dwordx4 v4, v[0:3], s[10:11] offset:32
	;; [unrolled: 1-line block ×3, first 2 shown]
	s_and_saveexec_b64 s[10:11], s[4:5]
	s_cbranch_execz .LBB6_16
; %bb.9:
	v_mov_b32_e32 v7, 0
	global_load_dwordx2 v[13:14], v7, s[6:7] offset:32 glc
	global_load_dwordx2 v[0:1], v7, s[6:7] offset:40
	v_mov_b32_e32 v11, s8
	v_mov_b32_e32 v12, s9
	s_waitcnt vmcnt(0)
	v_and_b32_e32 v0, s8, v0
	v_and_b32_e32 v1, s9, v1
	v_mul_lo_u32 v1, v1, 24
	v_mul_hi_u32 v2, v0, 24
	v_mul_lo_u32 v0, v0, 24
	v_add_u32_e32 v1, v2, v1
	v_add_co_u32_e32 v4, vcc, v5, v0
	v_addc_co_u32_e32 v5, vcc, v6, v1, vcc
	global_store_dwordx2 v[4:5], v[13:14], off
	s_waitcnt vmcnt(0)
	global_atomic_cmpswap_x2 v[2:3], v7, v[11:14], s[6:7] offset:32 glc
	s_waitcnt vmcnt(0)
	v_cmp_ne_u64_e32 vcc, v[2:3], v[13:14]
	s_and_saveexec_b64 s[12:13], vcc
	s_cbranch_execz .LBB6_12
; %bb.10:
	s_mov_b64 s[14:15], 0
.LBB6_11:                               ; =>This Inner Loop Header: Depth=1
	s_sleep 1
	global_store_dwordx2 v[4:5], v[2:3], off
	v_mov_b32_e32 v0, s8
	v_mov_b32_e32 v1, s9
	s_waitcnt vmcnt(0)
	global_atomic_cmpswap_x2 v[0:1], v7, v[0:3], s[6:7] offset:32 glc
	s_waitcnt vmcnt(0)
	v_cmp_eq_u64_e32 vcc, v[0:1], v[2:3]
	v_mov_b32_e32 v3, v1
	s_or_b64 s[14:15], vcc, s[14:15]
	v_mov_b32_e32 v2, v0
	s_andn2_b64 exec, exec, s[14:15]
	s_cbranch_execnz .LBB6_11
.LBB6_12:
	s_or_b64 exec, exec, s[12:13]
	v_mov_b32_e32 v3, 0
	global_load_dwordx2 v[0:1], v3, s[6:7] offset:16
	s_mov_b64 s[12:13], exec
	v_mbcnt_lo_u32_b32 v2, s12, 0
	v_mbcnt_hi_u32_b32 v2, s13, v2
	v_cmp_eq_u32_e32 vcc, 0, v2
	s_and_saveexec_b64 s[14:15], vcc
	s_cbranch_execz .LBB6_14
; %bb.13:
	s_bcnt1_i32_b64 s12, s[12:13]
	v_mov_b32_e32 v2, s12
	s_waitcnt vmcnt(0)
	global_atomic_add_x2 v[0:1], v[2:3], off offset:8
.LBB6_14:
	s_or_b64 exec, exec, s[14:15]
	s_waitcnt vmcnt(0)
	global_load_dwordx2 v[2:3], v[0:1], off offset:16
	s_waitcnt vmcnt(0)
	v_cmp_eq_u64_e32 vcc, 0, v[2:3]
	s_cbranch_vccnz .LBB6_16
; %bb.15:
	global_load_dword v0, v[0:1], off offset:24
	v_mov_b32_e32 v1, 0
	s_waitcnt vmcnt(0)
	v_readfirstlane_b32 s12, v0
	s_and_b32 m0, s12, 0xffffff
	global_store_dwordx2 v[2:3], v[0:1], off
	s_sendmsg sendmsg(MSG_INTERRUPT)
.LBB6_16:
	s_or_b64 exec, exec, s[10:11]
	s_branch .LBB6_20
.LBB6_17:                               ;   in Loop: Header=BB6_20 Depth=1
	s_or_b64 exec, exec, s[10:11]
	v_readfirstlane_b32 s10, v0
	s_cmp_eq_u32 s10, 0
	s_cbranch_scc1 .LBB6_19
; %bb.18:                               ;   in Loop: Header=BB6_20 Depth=1
	s_sleep 1
	s_cbranch_execnz .LBB6_20
	s_branch .LBB6_22
.LBB6_19:
	s_branch .LBB6_22
.LBB6_20:                               ; =>This Inner Loop Header: Depth=1
	v_mov_b32_e32 v0, 1
	s_and_saveexec_b64 s[10:11], s[4:5]
	s_cbranch_execz .LBB6_17
; %bb.21:                               ;   in Loop: Header=BB6_20 Depth=1
	global_load_dword v0, v[9:10], off offset:20 glc
	s_waitcnt vmcnt(0)
	buffer_wbinvl1_vol
	v_and_b32_e32 v0, 1, v0
	s_branch .LBB6_17
.LBB6_22:
	s_and_saveexec_b64 s[10:11], s[4:5]
	s_cbranch_execz .LBB6_25
; %bb.23:
	v_mov_b32_e32 v6, 0
	global_load_dwordx2 v[0:1], v6, s[6:7] offset:40
	global_load_dwordx2 v[9:10], v6, s[6:7] offset:24 glc
	global_load_dwordx2 v[2:3], v6, s[6:7]
	s_waitcnt vmcnt(2)
	v_readfirstlane_b32 s12, v0
	v_readfirstlane_b32 s13, v1
	s_add_u32 s14, s12, 1
	s_addc_u32 s15, s13, 0
	s_add_u32 s4, s14, s8
	s_addc_u32 s5, s15, s9
	s_cmp_eq_u64 s[4:5], 0
	s_cselect_b32 s5, s15, s5
	s_cselect_b32 s4, s14, s4
	s_and_b64 s[8:9], s[4:5], s[12:13]
	s_mul_i32 s9, s9, 24
	s_mul_hi_u32 s12, s8, 24
	s_mul_i32 s8, s8, 24
	s_add_i32 s9, s12, s9
	v_mov_b32_e32 v0, s9
	s_waitcnt vmcnt(0)
	v_add_co_u32_e32 v4, vcc, s8, v2
	v_addc_co_u32_e32 v5, vcc, v3, v0, vcc
	v_mov_b32_e32 v7, s4
	global_store_dwordx2 v[4:5], v[9:10], off
	v_mov_b32_e32 v8, s5
	s_waitcnt vmcnt(0)
	global_atomic_cmpswap_x2 v[2:3], v6, v[7:10], s[6:7] offset:24 glc
	s_mov_b64 s[8:9], 0
	s_waitcnt vmcnt(0)
	v_cmp_ne_u64_e32 vcc, v[2:3], v[9:10]
	s_and_b64 exec, exec, vcc
	s_cbranch_execz .LBB6_25
.LBB6_24:                               ; =>This Inner Loop Header: Depth=1
	s_sleep 1
	global_store_dwordx2 v[4:5], v[2:3], off
	v_mov_b32_e32 v0, s4
	v_mov_b32_e32 v1, s5
	s_waitcnt vmcnt(0)
	global_atomic_cmpswap_x2 v[0:1], v6, v[0:3], s[6:7] offset:24 glc
	s_waitcnt vmcnt(0)
	v_cmp_eq_u64_e32 vcc, v[0:1], v[2:3]
	v_mov_b32_e32 v3, v1
	s_or_b64 s[8:9], vcc, s[8:9]
	v_mov_b32_e32 v2, v0
	s_andn2_b64 exec, exec, s[8:9]
	s_cbranch_execnz .LBB6_24
.LBB6_25:
	s_or_b64 exec, exec, s[10:11]
	s_waitcnt vmcnt(0) lgkmcnt(0)
	s_setpc_b64 s[30:31]
.Lfunc_end6:
	.size	__ockl_printf_append_args, .Lfunc_end6-__ockl_printf_append_args
                                        ; -- End function
	.set .L__ockl_printf_append_args.num_vgpr, 16
	.set .L__ockl_printf_append_args.num_agpr, 0
	.set .L__ockl_printf_append_args.numbered_sgpr, 32
	.set .L__ockl_printf_append_args.num_named_barrier, 0
	.set .L__ockl_printf_append_args.private_seg_size, 0
	.set .L__ockl_printf_append_args.uses_vcc, 1
	.set .L__ockl_printf_append_args.uses_flat_scratch, 0
	.set .L__ockl_printf_append_args.has_dyn_sized_stack, 0
	.set .L__ockl_printf_append_args.has_recursion, 0
	.set .L__ockl_printf_append_args.has_indirect_call, 0
	.section	.AMDGPU.csdata,"",@progbits
; Function info:
; codeLenInByte = 1204
; TotalNumSgprs: 36
; NumVgprs: 16
; ScratchSize: 0
; MemoryBound: 0
	.text
	.p2align	2                               ; -- Begin function _ZL14no_device_codePKciS0_iS0_
	.type	_ZL14no_device_codePKciS0_iS0_,@function
_ZL14no_device_codePKciS0_iS0_:         ; @_ZL14no_device_codePKciS0_iS0_
; %bb.0:
	s_waitcnt vmcnt(0) expcnt(0) lgkmcnt(0)
	s_mov_b32 s26, s33
	s_mov_b32 s33, s32
	s_or_saveexec_b64 s[4:5], -1
	buffer_store_dword v40, off, s[0:3], s33 ; 4-byte Folded Spill
	s_mov_b64 exec, s[4:5]
	v_writelane_b32 v40, s30, 0
	s_addk_i32 s32, 0x400
	v_writelane_b32 v40, s31, 1
	s_load_dwordx2 s[6:7], s[8:9], 0x50
	v_mbcnt_lo_u32_b32 v0, -1, 0
	v_mbcnt_hi_u32_b32 v30, -1, v0
	v_readfirstlane_b32 s4, v30
	v_mov_b32_e32 v5, 0
	v_mov_b32_e32 v6, 0
	v_cmp_eq_u32_e64 s[4:5], s4, v30
	s_and_saveexec_b64 s[10:11], s[4:5]
	s_cbranch_execz .LBB7_6
; %bb.1:
	v_mov_b32_e32 v0, 0
	s_waitcnt lgkmcnt(0)
	global_load_dwordx2 v[3:4], v0, s[6:7] offset:24 glc
	s_waitcnt vmcnt(0)
	buffer_wbinvl1_vol
	global_load_dwordx2 v[1:2], v0, s[6:7] offset:40
	global_load_dwordx2 v[5:6], v0, s[6:7]
	s_waitcnt vmcnt(1)
	v_and_b32_e32 v1, v1, v3
	v_and_b32_e32 v2, v2, v4
	v_mul_lo_u32 v2, v2, 24
	v_mul_hi_u32 v7, v1, 24
	v_mul_lo_u32 v1, v1, 24
	v_add_u32_e32 v2, v7, v2
	s_waitcnt vmcnt(0)
	v_add_co_u32_e32 v1, vcc, v5, v1
	v_addc_co_u32_e32 v2, vcc, v6, v2, vcc
	global_load_dwordx2 v[1:2], v[1:2], off glc
	s_waitcnt vmcnt(0)
	global_atomic_cmpswap_x2 v[5:6], v0, v[1:4], s[6:7] offset:24 glc
	s_waitcnt vmcnt(0)
	buffer_wbinvl1_vol
	v_cmp_ne_u64_e32 vcc, v[5:6], v[3:4]
	s_and_saveexec_b64 s[12:13], vcc
	s_cbranch_execz .LBB7_5
; %bb.2:
	s_mov_b64 s[14:15], 0
.LBB7_3:                                ; =>This Inner Loop Header: Depth=1
	s_sleep 1
	global_load_dwordx2 v[1:2], v0, s[6:7] offset:40
	global_load_dwordx2 v[7:8], v0, s[6:7]
	v_mov_b32_e32 v3, v5
	v_mov_b32_e32 v4, v6
	s_waitcnt vmcnt(1)
	v_and_b32_e32 v1, v1, v3
	s_waitcnt vmcnt(0)
	v_mad_u64_u32 v[5:6], s[16:17], v1, 24, v[7:8]
	v_and_b32_e32 v2, v2, v4
	v_mov_b32_e32 v1, v6
	v_mad_u64_u32 v[1:2], s[16:17], v2, 24, v[1:2]
	v_mov_b32_e32 v6, v1
	global_load_dwordx2 v[1:2], v[5:6], off glc
	s_waitcnt vmcnt(0)
	global_atomic_cmpswap_x2 v[5:6], v0, v[1:4], s[6:7] offset:24 glc
	s_waitcnt vmcnt(0)
	buffer_wbinvl1_vol
	v_cmp_eq_u64_e32 vcc, v[5:6], v[3:4]
	s_or_b64 s[14:15], vcc, s[14:15]
	s_andn2_b64 exec, exec, s[14:15]
	s_cbranch_execnz .LBB7_3
; %bb.4:
	s_or_b64 exec, exec, s[14:15]
.LBB7_5:
	s_or_b64 exec, exec, s[12:13]
.LBB7_6:
	s_or_b64 exec, exec, s[10:11]
	v_mov_b32_e32 v4, 0
	s_waitcnt lgkmcnt(0)
	global_load_dwordx2 v[7:8], v4, s[6:7] offset:40
	global_load_dwordx4 v[0:3], v4, s[6:7]
	v_readfirstlane_b32 s11, v6
	v_readfirstlane_b32 s10, v5
	s_mov_b64 s[12:13], exec
	s_waitcnt vmcnt(1)
	v_readfirstlane_b32 s14, v7
	v_readfirstlane_b32 s15, v8
	s_and_b64 s[14:15], s[14:15], s[10:11]
	s_mul_i32 s16, s15, 24
	s_mul_hi_u32 s17, s14, 24
	s_mul_i32 s18, s14, 24
	s_add_i32 s16, s17, s16
	v_mov_b32_e32 v5, s16
	s_waitcnt vmcnt(0)
	v_add_co_u32_e32 v7, vcc, s18, v0
	v_addc_co_u32_e32 v8, vcc, v1, v5, vcc
	s_and_saveexec_b64 s[16:17], s[4:5]
	s_cbranch_execz .LBB7_8
; %bb.7:
	v_mov_b32_e32 v9, s12
	v_mov_b32_e32 v10, s13
	;; [unrolled: 1-line block ×4, first 2 shown]
	global_store_dwordx4 v[7:8], v[9:12], off offset:8
.LBB7_8:
	s_or_b64 exec, exec, s[16:17]
	s_lshl_b64 s[12:13], s[14:15], 12
	v_mov_b32_e32 v5, s13
	v_add_co_u32_e32 v2, vcc, s12, v2
	v_addc_co_u32_e32 v11, vcc, v3, v5, vcc
	v_lshlrev_b32_e32 v29, 6, v30
	s_mov_b32 s12, 0
	v_mov_b32_e32 v3, 33
	v_mov_b32_e32 v5, v4
	v_mov_b32_e32 v6, v4
	v_readfirstlane_b32 s16, v2
	v_readfirstlane_b32 s17, v11
	v_add_co_u32_e32 v9, vcc, v2, v29
	s_mov_b32 s13, s12
	s_mov_b32 s14, s12
	;; [unrolled: 1-line block ×3, first 2 shown]
	s_nop 0
	global_store_dwordx4 v29, v[3:6], s[16:17]
	v_mov_b32_e32 v2, s12
	v_addc_co_u32_e32 v10, vcc, 0, v11, vcc
	v_mov_b32_e32 v3, s13
	v_mov_b32_e32 v4, s14
	;; [unrolled: 1-line block ×3, first 2 shown]
	global_store_dwordx4 v29, v[2:5], s[16:17] offset:16
	global_store_dwordx4 v29, v[2:5], s[16:17] offset:32
	;; [unrolled: 1-line block ×3, first 2 shown]
	s_and_saveexec_b64 s[12:13], s[4:5]
	s_cbranch_execz .LBB7_16
; %bb.9:
	v_mov_b32_e32 v6, 0
	global_load_dwordx2 v[13:14], v6, s[6:7] offset:32 glc
	global_load_dwordx2 v[2:3], v6, s[6:7] offset:40
	v_mov_b32_e32 v11, s10
	v_mov_b32_e32 v12, s11
	s_waitcnt vmcnt(0)
	v_and_b32_e32 v2, s10, v2
	v_and_b32_e32 v3, s11, v3
	v_mul_lo_u32 v3, v3, 24
	v_mul_hi_u32 v4, v2, 24
	v_mul_lo_u32 v2, v2, 24
	v_add_u32_e32 v3, v4, v3
	v_add_co_u32_e32 v4, vcc, v0, v2
	v_addc_co_u32_e32 v5, vcc, v1, v3, vcc
	global_store_dwordx2 v[4:5], v[13:14], off
	s_waitcnt vmcnt(0)
	global_atomic_cmpswap_x2 v[2:3], v6, v[11:14], s[6:7] offset:32 glc
	s_waitcnt vmcnt(0)
	v_cmp_ne_u64_e32 vcc, v[2:3], v[13:14]
	s_and_saveexec_b64 s[14:15], vcc
	s_cbranch_execz .LBB7_12
; %bb.10:
	s_mov_b64 s[16:17], 0
.LBB7_11:                               ; =>This Inner Loop Header: Depth=1
	s_sleep 1
	global_store_dwordx2 v[4:5], v[2:3], off
	v_mov_b32_e32 v0, s10
	v_mov_b32_e32 v1, s11
	s_waitcnt vmcnt(0)
	global_atomic_cmpswap_x2 v[0:1], v6, v[0:3], s[6:7] offset:32 glc
	s_waitcnt vmcnt(0)
	v_cmp_eq_u64_e32 vcc, v[0:1], v[2:3]
	v_mov_b32_e32 v3, v1
	s_or_b64 s[16:17], vcc, s[16:17]
	v_mov_b32_e32 v2, v0
	s_andn2_b64 exec, exec, s[16:17]
	s_cbranch_execnz .LBB7_11
.LBB7_12:
	s_or_b64 exec, exec, s[14:15]
	v_mov_b32_e32 v3, 0
	global_load_dwordx2 v[0:1], v3, s[6:7] offset:16
	s_mov_b64 s[14:15], exec
	v_mbcnt_lo_u32_b32 v2, s14, 0
	v_mbcnt_hi_u32_b32 v2, s15, v2
	v_cmp_eq_u32_e32 vcc, 0, v2
	s_and_saveexec_b64 s[16:17], vcc
	s_cbranch_execz .LBB7_14
; %bb.13:
	s_bcnt1_i32_b64 s14, s[14:15]
	v_mov_b32_e32 v2, s14
	s_waitcnt vmcnt(0)
	global_atomic_add_x2 v[0:1], v[2:3], off offset:8
.LBB7_14:
	s_or_b64 exec, exec, s[16:17]
	s_waitcnt vmcnt(0)
	global_load_dwordx2 v[2:3], v[0:1], off offset:16
	s_waitcnt vmcnt(0)
	v_cmp_eq_u64_e32 vcc, 0, v[2:3]
	s_cbranch_vccnz .LBB7_16
; %bb.15:
	global_load_dword v0, v[0:1], off offset:24
	v_mov_b32_e32 v1, 0
	s_waitcnt vmcnt(0)
	v_readfirstlane_b32 s14, v0
	s_and_b32 m0, s14, 0xffffff
	global_store_dwordx2 v[2:3], v[0:1], off
	s_sendmsg sendmsg(MSG_INTERRUPT)
.LBB7_16:
	s_or_b64 exec, exec, s[12:13]
	s_branch .LBB7_20
.LBB7_17:                               ;   in Loop: Header=BB7_20 Depth=1
	s_or_b64 exec, exec, s[12:13]
	v_readfirstlane_b32 s12, v0
	s_cmp_eq_u32 s12, 0
	s_cbranch_scc1 .LBB7_19
; %bb.18:                               ;   in Loop: Header=BB7_20 Depth=1
	s_sleep 1
	s_cbranch_execnz .LBB7_20
	s_branch .LBB7_22
.LBB7_19:
	s_branch .LBB7_22
.LBB7_20:                               ; =>This Inner Loop Header: Depth=1
	v_mov_b32_e32 v0, 1
	s_and_saveexec_b64 s[12:13], s[4:5]
	s_cbranch_execz .LBB7_17
; %bb.21:                               ;   in Loop: Header=BB7_20 Depth=1
	global_load_dword v0, v[7:8], off offset:20 glc
	s_waitcnt vmcnt(0)
	buffer_wbinvl1_vol
	v_and_b32_e32 v0, 1, v0
	s_branch .LBB7_17
.LBB7_22:
	global_load_dwordx2 v[4:5], v[9:10], off
	s_and_saveexec_b64 s[12:13], s[4:5]
	s_cbranch_execz .LBB7_25
; %bb.23:
	v_mov_b32_e32 v8, 0
	global_load_dwordx2 v[0:1], v8, s[6:7] offset:40
	global_load_dwordx2 v[11:12], v8, s[6:7] offset:24 glc
	global_load_dwordx2 v[2:3], v8, s[6:7]
	s_waitcnt vmcnt(2)
	v_readfirstlane_b32 s14, v0
	v_readfirstlane_b32 s15, v1
	s_add_u32 s16, s14, 1
	s_addc_u32 s17, s15, 0
	s_add_u32 s4, s16, s10
	s_addc_u32 s5, s17, s11
	s_cmp_eq_u64 s[4:5], 0
	s_cselect_b32 s5, s17, s5
	s_cselect_b32 s4, s16, s4
	s_and_b64 s[10:11], s[4:5], s[14:15]
	s_mul_i32 s11, s11, 24
	s_mul_hi_u32 s14, s10, 24
	s_mul_i32 s10, s10, 24
	s_add_i32 s11, s14, s11
	v_mov_b32_e32 v0, s11
	s_waitcnt vmcnt(0)
	v_add_co_u32_e32 v6, vcc, s10, v2
	v_addc_co_u32_e32 v7, vcc, v3, v0, vcc
	v_mov_b32_e32 v9, s4
	global_store_dwordx2 v[6:7], v[11:12], off
	v_mov_b32_e32 v10, s5
	s_waitcnt vmcnt(0)
	global_atomic_cmpswap_x2 v[2:3], v8, v[9:12], s[6:7] offset:24 glc
	s_mov_b64 s[10:11], 0
	s_waitcnt vmcnt(0)
	v_cmp_ne_u64_e32 vcc, v[2:3], v[11:12]
	s_and_b64 exec, exec, vcc
	s_cbranch_execz .LBB7_25
.LBB7_24:                               ; =>This Inner Loop Header: Depth=1
	s_sleep 1
	global_store_dwordx2 v[6:7], v[2:3], off
	v_mov_b32_e32 v0, s4
	v_mov_b32_e32 v1, s5
	s_waitcnt vmcnt(0)
	global_atomic_cmpswap_x2 v[0:1], v8, v[0:3], s[6:7] offset:24 glc
	s_waitcnt vmcnt(0)
	v_cmp_eq_u64_e32 vcc, v[0:1], v[2:3]
	v_mov_b32_e32 v3, v1
	s_or_b64 s[10:11], vcc, s[10:11]
	v_mov_b32_e32 v2, v0
	s_andn2_b64 exec, exec, s[10:11]
	s_cbranch_execnz .LBB7_24
.LBB7_25:
	s_or_b64 exec, exec, s[12:13]
	s_getpc_b64 s[10:11]
	s_add_u32 s10, s10, .str.5@rel32@lo+4
	s_addc_u32 s11, s11, .str.5@rel32@hi+12
	s_cmp_lg_u64 s[10:11], 0
	s_cbranch_scc0 .LBB7_110
; %bb.26:
	s_waitcnt vmcnt(0)
	v_and_b32_e32 v31, 2, v4
	v_mov_b32_e32 v26, 0
	v_and_b32_e32 v0, -3, v4
	v_mov_b32_e32 v1, v5
	s_mov_b64 s[12:13], 0x4d
	v_mov_b32_e32 v8, 2
	v_mov_b32_e32 v9, 1
	s_branch .LBB7_28
.LBB7_27:                               ;   in Loop: Header=BB7_28 Depth=1
	s_or_b64 exec, exec, s[18:19]
	s_sub_u32 s12, s12, s14
	s_subb_u32 s13, s13, s15
	s_add_u32 s10, s10, s14
	s_addc_u32 s11, s11, s15
	s_cmp_lg_u64 s[12:13], 0
	s_cbranch_scc0 .LBB7_111
.LBB7_28:                               ; =>This Loop Header: Depth=1
                                        ;     Child Loop BB7_31 Depth 2
                                        ;     Child Loop BB7_39 Depth 2
	;; [unrolled: 1-line block ×11, first 2 shown]
	v_cmp_lt_u64_e64 s[4:5], s[12:13], 56
	v_cmp_gt_u64_e64 s[16:17], s[12:13], 7
	s_and_b64 s[4:5], s[4:5], exec
	s_cselect_b32 s15, s13, 0
	s_cselect_b32 s14, s12, 56
	s_add_u32 s4, s10, 8
	s_addc_u32 s5, s11, 0
	s_and_b64 vcc, exec, s[16:17]
	s_cbranch_vccnz .LBB7_32
; %bb.29:                               ;   in Loop: Header=BB7_28 Depth=1
	s_cmp_eq_u64 s[12:13], 0
	s_cbranch_scc1 .LBB7_33
; %bb.30:                               ;   in Loop: Header=BB7_28 Depth=1
	v_mov_b32_e32 v2, 0
	s_lshl_b64 s[4:5], s[14:15], 3
	s_mov_b64 s[16:17], 0
	v_mov_b32_e32 v3, 0
	s_mov_b64 s[18:19], s[10:11]
.LBB7_31:                               ;   Parent Loop BB7_28 Depth=1
                                        ; =>  This Inner Loop Header: Depth=2
	global_load_ubyte v6, v26, s[18:19]
	s_waitcnt vmcnt(0)
	v_and_b32_e32 v25, 0xffff, v6
	v_lshlrev_b64 v[6:7], s16, v[25:26]
	s_add_u32 s16, s16, 8
	s_addc_u32 s17, s17, 0
	s_add_u32 s18, s18, 1
	s_addc_u32 s19, s19, 0
	v_or_b32_e32 v2, v6, v2
	s_cmp_lg_u32 s4, s16
	v_or_b32_e32 v3, v7, v3
	s_cbranch_scc1 .LBB7_31
	s_branch .LBB7_34
.LBB7_32:                               ;   in Loop: Header=BB7_28 Depth=1
	s_mov_b32 s20, 0
	s_branch .LBB7_35
.LBB7_33:                               ;   in Loop: Header=BB7_28 Depth=1
	v_mov_b32_e32 v2, 0
	v_mov_b32_e32 v3, 0
.LBB7_34:                               ;   in Loop: Header=BB7_28 Depth=1
	s_mov_b64 s[4:5], s[10:11]
	s_mov_b32 s20, 0
	s_cbranch_execnz .LBB7_36
.LBB7_35:                               ;   in Loop: Header=BB7_28 Depth=1
	global_load_dwordx2 v[2:3], v26, s[10:11]
	s_add_i32 s20, s14, -8
.LBB7_36:                               ;   in Loop: Header=BB7_28 Depth=1
	s_add_u32 s16, s4, 8
	s_addc_u32 s17, s5, 0
	s_cmp_gt_u32 s20, 7
	s_cbranch_scc1 .LBB7_40
; %bb.37:                               ;   in Loop: Header=BB7_28 Depth=1
	s_cmp_eq_u32 s20, 0
	s_cbranch_scc1 .LBB7_41
; %bb.38:                               ;   in Loop: Header=BB7_28 Depth=1
	v_mov_b32_e32 v10, 0
	s_mov_b64 s[16:17], 0
	v_mov_b32_e32 v11, 0
	s_mov_b64 s[18:19], 0
.LBB7_39:                               ;   Parent Loop BB7_28 Depth=1
                                        ; =>  This Inner Loop Header: Depth=2
	s_add_u32 s22, s4, s18
	s_addc_u32 s23, s5, s19
	global_load_ubyte v6, v26, s[22:23]
	s_add_u32 s18, s18, 1
	s_addc_u32 s19, s19, 0
	s_waitcnt vmcnt(0)
	v_and_b32_e32 v25, 0xffff, v6
	v_lshlrev_b64 v[6:7], s16, v[25:26]
	s_add_u32 s16, s16, 8
	s_addc_u32 s17, s17, 0
	v_or_b32_e32 v10, v6, v10
	s_cmp_lg_u32 s20, s18
	v_or_b32_e32 v11, v7, v11
	s_cbranch_scc1 .LBB7_39
	s_branch .LBB7_42
.LBB7_40:                               ;   in Loop: Header=BB7_28 Depth=1
                                        ; implicit-def: $vgpr10_vgpr11
	s_mov_b32 s21, 0
	s_branch .LBB7_43
.LBB7_41:                               ;   in Loop: Header=BB7_28 Depth=1
	v_mov_b32_e32 v10, 0
	v_mov_b32_e32 v11, 0
.LBB7_42:                               ;   in Loop: Header=BB7_28 Depth=1
	s_mov_b64 s[16:17], s[4:5]
	s_mov_b32 s21, 0
	s_cbranch_execnz .LBB7_44
.LBB7_43:                               ;   in Loop: Header=BB7_28 Depth=1
	global_load_dwordx2 v[10:11], v26, s[4:5]
	s_add_i32 s21, s20, -8
.LBB7_44:                               ;   in Loop: Header=BB7_28 Depth=1
	s_add_u32 s4, s16, 8
	s_addc_u32 s5, s17, 0
	s_cmp_gt_u32 s21, 7
	s_cbranch_scc1 .LBB7_48
; %bb.45:                               ;   in Loop: Header=BB7_28 Depth=1
	s_cmp_eq_u32 s21, 0
	s_cbranch_scc1 .LBB7_49
; %bb.46:                               ;   in Loop: Header=BB7_28 Depth=1
	v_mov_b32_e32 v12, 0
	s_mov_b64 s[4:5], 0
	v_mov_b32_e32 v13, 0
	s_mov_b64 s[18:19], 0
.LBB7_47:                               ;   Parent Loop BB7_28 Depth=1
                                        ; =>  This Inner Loop Header: Depth=2
	s_add_u32 s22, s16, s18
	s_addc_u32 s23, s17, s19
	global_load_ubyte v6, v26, s[22:23]
	s_add_u32 s18, s18, 1
	s_addc_u32 s19, s19, 0
	s_waitcnt vmcnt(0)
	v_and_b32_e32 v25, 0xffff, v6
	v_lshlrev_b64 v[6:7], s4, v[25:26]
	s_add_u32 s4, s4, 8
	s_addc_u32 s5, s5, 0
	v_or_b32_e32 v12, v6, v12
	s_cmp_lg_u32 s21, s18
	v_or_b32_e32 v13, v7, v13
	s_cbranch_scc1 .LBB7_47
	s_branch .LBB7_50
.LBB7_48:                               ;   in Loop: Header=BB7_28 Depth=1
	s_mov_b32 s20, 0
	s_branch .LBB7_51
.LBB7_49:                               ;   in Loop: Header=BB7_28 Depth=1
	v_mov_b32_e32 v12, 0
	v_mov_b32_e32 v13, 0
.LBB7_50:                               ;   in Loop: Header=BB7_28 Depth=1
	s_mov_b64 s[4:5], s[16:17]
	s_mov_b32 s20, 0
	s_cbranch_execnz .LBB7_52
.LBB7_51:                               ;   in Loop: Header=BB7_28 Depth=1
	global_load_dwordx2 v[12:13], v26, s[16:17]
	s_add_i32 s20, s21, -8
.LBB7_52:                               ;   in Loop: Header=BB7_28 Depth=1
	s_add_u32 s16, s4, 8
	s_addc_u32 s17, s5, 0
	s_cmp_gt_u32 s20, 7
	s_cbranch_scc1 .LBB7_56
; %bb.53:                               ;   in Loop: Header=BB7_28 Depth=1
	s_cmp_eq_u32 s20, 0
	s_cbranch_scc1 .LBB7_57
; %bb.54:                               ;   in Loop: Header=BB7_28 Depth=1
	v_mov_b32_e32 v14, 0
	s_mov_b64 s[16:17], 0
	v_mov_b32_e32 v15, 0
	s_mov_b64 s[18:19], 0
.LBB7_55:                               ;   Parent Loop BB7_28 Depth=1
                                        ; =>  This Inner Loop Header: Depth=2
	s_add_u32 s22, s4, s18
	s_addc_u32 s23, s5, s19
	global_load_ubyte v6, v26, s[22:23]
	s_add_u32 s18, s18, 1
	s_addc_u32 s19, s19, 0
	s_waitcnt vmcnt(0)
	v_and_b32_e32 v25, 0xffff, v6
	v_lshlrev_b64 v[6:7], s16, v[25:26]
	s_add_u32 s16, s16, 8
	s_addc_u32 s17, s17, 0
	v_or_b32_e32 v14, v6, v14
	s_cmp_lg_u32 s20, s18
	v_or_b32_e32 v15, v7, v15
	s_cbranch_scc1 .LBB7_55
	s_branch .LBB7_58
.LBB7_56:                               ;   in Loop: Header=BB7_28 Depth=1
                                        ; implicit-def: $vgpr14_vgpr15
	s_mov_b32 s21, 0
	s_branch .LBB7_59
.LBB7_57:                               ;   in Loop: Header=BB7_28 Depth=1
	v_mov_b32_e32 v14, 0
	v_mov_b32_e32 v15, 0
.LBB7_58:                               ;   in Loop: Header=BB7_28 Depth=1
	s_mov_b64 s[16:17], s[4:5]
	s_mov_b32 s21, 0
	s_cbranch_execnz .LBB7_60
.LBB7_59:                               ;   in Loop: Header=BB7_28 Depth=1
	global_load_dwordx2 v[14:15], v26, s[4:5]
	s_add_i32 s21, s20, -8
.LBB7_60:                               ;   in Loop: Header=BB7_28 Depth=1
	s_add_u32 s4, s16, 8
	s_addc_u32 s5, s17, 0
	s_cmp_gt_u32 s21, 7
	s_cbranch_scc1 .LBB7_64
; %bb.61:                               ;   in Loop: Header=BB7_28 Depth=1
	s_cmp_eq_u32 s21, 0
	s_cbranch_scc1 .LBB7_65
; %bb.62:                               ;   in Loop: Header=BB7_28 Depth=1
	v_mov_b32_e32 v16, 0
	s_mov_b64 s[4:5], 0
	v_mov_b32_e32 v17, 0
	s_mov_b64 s[18:19], 0
.LBB7_63:                               ;   Parent Loop BB7_28 Depth=1
                                        ; =>  This Inner Loop Header: Depth=2
	s_add_u32 s22, s16, s18
	s_addc_u32 s23, s17, s19
	global_load_ubyte v6, v26, s[22:23]
	s_add_u32 s18, s18, 1
	s_addc_u32 s19, s19, 0
	s_waitcnt vmcnt(0)
	v_and_b32_e32 v25, 0xffff, v6
	v_lshlrev_b64 v[6:7], s4, v[25:26]
	s_add_u32 s4, s4, 8
	s_addc_u32 s5, s5, 0
	v_or_b32_e32 v16, v6, v16
	s_cmp_lg_u32 s21, s18
	v_or_b32_e32 v17, v7, v17
	s_cbranch_scc1 .LBB7_63
	s_branch .LBB7_66
.LBB7_64:                               ;   in Loop: Header=BB7_28 Depth=1
	s_mov_b32 s20, 0
	s_branch .LBB7_67
.LBB7_65:                               ;   in Loop: Header=BB7_28 Depth=1
	v_mov_b32_e32 v16, 0
	v_mov_b32_e32 v17, 0
.LBB7_66:                               ;   in Loop: Header=BB7_28 Depth=1
	s_mov_b64 s[4:5], s[16:17]
	s_mov_b32 s20, 0
	s_cbranch_execnz .LBB7_68
.LBB7_67:                               ;   in Loop: Header=BB7_28 Depth=1
	global_load_dwordx2 v[16:17], v26, s[16:17]
	s_add_i32 s20, s21, -8
.LBB7_68:                               ;   in Loop: Header=BB7_28 Depth=1
	s_add_u32 s16, s4, 8
	s_addc_u32 s17, s5, 0
	s_cmp_gt_u32 s20, 7
	s_cbranch_scc1 .LBB7_72
; %bb.69:                               ;   in Loop: Header=BB7_28 Depth=1
	s_cmp_eq_u32 s20, 0
	s_cbranch_scc1 .LBB7_73
; %bb.70:                               ;   in Loop: Header=BB7_28 Depth=1
	v_mov_b32_e32 v18, 0
	s_mov_b64 s[16:17], 0
	v_mov_b32_e32 v19, 0
	s_mov_b64 s[18:19], 0
.LBB7_71:                               ;   Parent Loop BB7_28 Depth=1
                                        ; =>  This Inner Loop Header: Depth=2
	s_add_u32 s22, s4, s18
	s_addc_u32 s23, s5, s19
	global_load_ubyte v6, v26, s[22:23]
	s_add_u32 s18, s18, 1
	s_addc_u32 s19, s19, 0
	s_waitcnt vmcnt(0)
	v_and_b32_e32 v25, 0xffff, v6
	v_lshlrev_b64 v[6:7], s16, v[25:26]
	s_add_u32 s16, s16, 8
	s_addc_u32 s17, s17, 0
	v_or_b32_e32 v18, v6, v18
	s_cmp_lg_u32 s20, s18
	v_or_b32_e32 v19, v7, v19
	s_cbranch_scc1 .LBB7_71
	s_branch .LBB7_74
.LBB7_72:                               ;   in Loop: Header=BB7_28 Depth=1
                                        ; implicit-def: $vgpr18_vgpr19
	s_mov_b32 s21, 0
	s_branch .LBB7_75
.LBB7_73:                               ;   in Loop: Header=BB7_28 Depth=1
	v_mov_b32_e32 v18, 0
	v_mov_b32_e32 v19, 0
.LBB7_74:                               ;   in Loop: Header=BB7_28 Depth=1
	s_mov_b64 s[16:17], s[4:5]
	s_mov_b32 s21, 0
	s_cbranch_execnz .LBB7_76
.LBB7_75:                               ;   in Loop: Header=BB7_28 Depth=1
	global_load_dwordx2 v[18:19], v26, s[4:5]
	s_add_i32 s21, s20, -8
.LBB7_76:                               ;   in Loop: Header=BB7_28 Depth=1
	s_cmp_gt_u32 s21, 7
	s_cbranch_scc1 .LBB7_80
; %bb.77:                               ;   in Loop: Header=BB7_28 Depth=1
	s_cmp_eq_u32 s21, 0
	s_cbranch_scc1 .LBB7_81
; %bb.78:                               ;   in Loop: Header=BB7_28 Depth=1
	v_mov_b32_e32 v20, 0
	s_mov_b64 s[4:5], 0
	v_mov_b32_e32 v21, 0
	s_mov_b64 s[18:19], s[16:17]
.LBB7_79:                               ;   Parent Loop BB7_28 Depth=1
                                        ; =>  This Inner Loop Header: Depth=2
	global_load_ubyte v6, v26, s[18:19]
	s_add_i32 s21, s21, -1
	s_waitcnt vmcnt(0)
	v_and_b32_e32 v25, 0xffff, v6
	v_lshlrev_b64 v[6:7], s4, v[25:26]
	s_add_u32 s4, s4, 8
	s_addc_u32 s5, s5, 0
	s_add_u32 s18, s18, 1
	s_addc_u32 s19, s19, 0
	v_or_b32_e32 v20, v6, v20
	s_cmp_lg_u32 s21, 0
	v_or_b32_e32 v21, v7, v21
	s_cbranch_scc1 .LBB7_79
	s_branch .LBB7_82
.LBB7_80:                               ;   in Loop: Header=BB7_28 Depth=1
	s_branch .LBB7_83
.LBB7_81:                               ;   in Loop: Header=BB7_28 Depth=1
	v_mov_b32_e32 v20, 0
	v_mov_b32_e32 v21, 0
.LBB7_82:                               ;   in Loop: Header=BB7_28 Depth=1
	s_cbranch_execnz .LBB7_84
.LBB7_83:                               ;   in Loop: Header=BB7_28 Depth=1
	global_load_dwordx2 v[20:21], v26, s[16:17]
.LBB7_84:                               ;   in Loop: Header=BB7_28 Depth=1
	v_readfirstlane_b32 s4, v30
	v_mov_b32_e32 v6, 0
	v_mov_b32_e32 v7, 0
	v_cmp_eq_u32_e64 s[4:5], s4, v30
	s_and_saveexec_b64 s[16:17], s[4:5]
	s_cbranch_execz .LBB7_90
; %bb.85:                               ;   in Loop: Header=BB7_28 Depth=1
	global_load_dwordx2 v[24:25], v26, s[6:7] offset:24 glc
	s_waitcnt vmcnt(0)
	buffer_wbinvl1_vol
	global_load_dwordx2 v[6:7], v26, s[6:7] offset:40
	global_load_dwordx2 v[22:23], v26, s[6:7]
	s_waitcnt vmcnt(1)
	v_and_b32_e32 v6, v6, v24
	v_and_b32_e32 v7, v7, v25
	v_mul_lo_u32 v7, v7, 24
	v_mul_hi_u32 v27, v6, 24
	v_mul_lo_u32 v6, v6, 24
	v_add_u32_e32 v7, v27, v7
	s_waitcnt vmcnt(0)
	v_add_co_u32_e32 v6, vcc, v22, v6
	v_addc_co_u32_e32 v7, vcc, v23, v7, vcc
	global_load_dwordx2 v[22:23], v[6:7], off glc
	s_waitcnt vmcnt(0)
	global_atomic_cmpswap_x2 v[6:7], v26, v[22:25], s[6:7] offset:24 glc
	s_waitcnt vmcnt(0)
	buffer_wbinvl1_vol
	v_cmp_ne_u64_e32 vcc, v[6:7], v[24:25]
	s_and_saveexec_b64 s[18:19], vcc
	s_cbranch_execz .LBB7_89
; %bb.86:                               ;   in Loop: Header=BB7_28 Depth=1
	s_mov_b64 s[20:21], 0
.LBB7_87:                               ;   Parent Loop BB7_28 Depth=1
                                        ; =>  This Inner Loop Header: Depth=2
	s_sleep 1
	global_load_dwordx2 v[22:23], v26, s[6:7] offset:40
	global_load_dwordx2 v[27:28], v26, s[6:7]
	v_mov_b32_e32 v25, v7
	v_mov_b32_e32 v24, v6
	s_waitcnt vmcnt(1)
	v_and_b32_e32 v6, v22, v24
	s_waitcnt vmcnt(0)
	v_mad_u64_u32 v[6:7], s[22:23], v6, 24, v[27:28]
	v_and_b32_e32 v22, v23, v25
	v_mad_u64_u32 v[22:23], s[22:23], v22, 24, v[7:8]
	v_mov_b32_e32 v7, v22
	global_load_dwordx2 v[22:23], v[6:7], off glc
	s_waitcnt vmcnt(0)
	global_atomic_cmpswap_x2 v[6:7], v26, v[22:25], s[6:7] offset:24 glc
	s_waitcnt vmcnt(0)
	buffer_wbinvl1_vol
	v_cmp_eq_u64_e32 vcc, v[6:7], v[24:25]
	s_or_b64 s[20:21], vcc, s[20:21]
	s_andn2_b64 exec, exec, s[20:21]
	s_cbranch_execnz .LBB7_87
; %bb.88:                               ;   in Loop: Header=BB7_28 Depth=1
	s_or_b64 exec, exec, s[20:21]
.LBB7_89:                               ;   in Loop: Header=BB7_28 Depth=1
	s_or_b64 exec, exec, s[18:19]
.LBB7_90:                               ;   in Loop: Header=BB7_28 Depth=1
	s_or_b64 exec, exec, s[16:17]
	global_load_dwordx2 v[27:28], v26, s[6:7] offset:40
	global_load_dwordx4 v[22:25], v26, s[6:7]
	v_readfirstlane_b32 s17, v7
	v_readfirstlane_b32 s16, v6
	s_mov_b64 s[18:19], exec
	s_waitcnt vmcnt(1)
	v_readfirstlane_b32 s20, v27
	v_readfirstlane_b32 s21, v28
	s_and_b64 s[20:21], s[20:21], s[16:17]
	s_mul_i32 s22, s21, 24
	s_mul_hi_u32 s23, s20, 24
	s_mul_i32 s24, s20, 24
	s_add_i32 s22, s23, s22
	v_mov_b32_e32 v6, s22
	s_waitcnt vmcnt(0)
	v_add_co_u32_e32 v27, vcc, s24, v22
	v_addc_co_u32_e32 v28, vcc, v23, v6, vcc
	s_and_saveexec_b64 s[22:23], s[4:5]
	s_cbranch_execz .LBB7_92
; %bb.91:                               ;   in Loop: Header=BB7_28 Depth=1
	v_mov_b32_e32 v6, s18
	v_mov_b32_e32 v7, s19
	global_store_dwordx4 v[27:28], v[6:9], off offset:8
.LBB7_92:                               ;   in Loop: Header=BB7_28 Depth=1
	s_or_b64 exec, exec, s[22:23]
	s_lshl_b64 s[18:19], s[20:21], 12
	v_mov_b32_e32 v6, s19
	v_add_co_u32_e32 v24, vcc, s18, v24
	v_addc_co_u32_e32 v32, vcc, v25, v6, vcc
	v_cmp_lt_u64_e64 vcc, s[12:13], 57
	s_lshl_b32 s18, s14, 2
	v_cndmask_b32_e32 v6, 0, v31, vcc
	s_add_i32 s18, s18, 28
	v_and_b32_e32 v0, 0xffffff1f, v0
	s_and_b32 s18, s18, 0x1e0
	v_or_b32_e32 v0, v0, v6
	v_or_b32_e32 v0, s18, v0
	v_readfirstlane_b32 s18, v24
	v_readfirstlane_b32 s19, v32
	s_nop 4
	global_store_dwordx4 v29, v[0:3], s[18:19]
	global_store_dwordx4 v29, v[10:13], s[18:19] offset:16
	global_store_dwordx4 v29, v[14:17], s[18:19] offset:32
	;; [unrolled: 1-line block ×3, first 2 shown]
	s_and_saveexec_b64 s[18:19], s[4:5]
	s_cbranch_execz .LBB7_100
; %bb.93:                               ;   in Loop: Header=BB7_28 Depth=1
	global_load_dwordx2 v[12:13], v26, s[6:7] offset:32 glc
	global_load_dwordx2 v[0:1], v26, s[6:7] offset:40
	v_mov_b32_e32 v10, s16
	v_mov_b32_e32 v11, s17
	s_waitcnt vmcnt(0)
	v_readfirstlane_b32 s20, v0
	v_readfirstlane_b32 s21, v1
	s_and_b64 s[20:21], s[20:21], s[16:17]
	s_mul_i32 s21, s21, 24
	s_mul_hi_u32 s22, s20, 24
	s_mul_i32 s20, s20, 24
	s_add_i32 s21, s22, s21
	v_mov_b32_e32 v0, s21
	v_add_co_u32_e32 v6, vcc, s20, v22
	v_addc_co_u32_e32 v7, vcc, v23, v0, vcc
	global_store_dwordx2 v[6:7], v[12:13], off
	s_waitcnt vmcnt(0)
	global_atomic_cmpswap_x2 v[2:3], v26, v[10:13], s[6:7] offset:32 glc
	s_waitcnt vmcnt(0)
	v_cmp_ne_u64_e32 vcc, v[2:3], v[12:13]
	s_and_saveexec_b64 s[20:21], vcc
	s_cbranch_execz .LBB7_96
; %bb.94:                               ;   in Loop: Header=BB7_28 Depth=1
	s_mov_b64 s[22:23], 0
.LBB7_95:                               ;   Parent Loop BB7_28 Depth=1
                                        ; =>  This Inner Loop Header: Depth=2
	s_sleep 1
	global_store_dwordx2 v[6:7], v[2:3], off
	v_mov_b32_e32 v0, s16
	v_mov_b32_e32 v1, s17
	s_waitcnt vmcnt(0)
	global_atomic_cmpswap_x2 v[0:1], v26, v[0:3], s[6:7] offset:32 glc
	s_waitcnt vmcnt(0)
	v_cmp_eq_u64_e32 vcc, v[0:1], v[2:3]
	v_mov_b32_e32 v3, v1
	s_or_b64 s[22:23], vcc, s[22:23]
	v_mov_b32_e32 v2, v0
	s_andn2_b64 exec, exec, s[22:23]
	s_cbranch_execnz .LBB7_95
.LBB7_96:                               ;   in Loop: Header=BB7_28 Depth=1
	s_or_b64 exec, exec, s[20:21]
	global_load_dwordx2 v[0:1], v26, s[6:7] offset:16
	s_mov_b64 s[22:23], exec
	v_mbcnt_lo_u32_b32 v2, s22, 0
	v_mbcnt_hi_u32_b32 v2, s23, v2
	v_cmp_eq_u32_e32 vcc, 0, v2
	s_and_saveexec_b64 s[20:21], vcc
	s_cbranch_execz .LBB7_98
; %bb.97:                               ;   in Loop: Header=BB7_28 Depth=1
	s_bcnt1_i32_b64 s22, s[22:23]
	v_mov_b32_e32 v25, s22
	s_waitcnt vmcnt(0)
	global_atomic_add_x2 v[0:1], v[25:26], off offset:8
.LBB7_98:                               ;   in Loop: Header=BB7_28 Depth=1
	s_or_b64 exec, exec, s[20:21]
	s_waitcnt vmcnt(0)
	global_load_dwordx2 v[2:3], v[0:1], off offset:16
	s_waitcnt vmcnt(0)
	v_cmp_eq_u64_e32 vcc, 0, v[2:3]
	s_cbranch_vccnz .LBB7_100
; %bb.99:                               ;   in Loop: Header=BB7_28 Depth=1
	global_load_dword v25, v[0:1], off offset:24
	s_waitcnt vmcnt(0)
	v_readfirstlane_b32 s20, v25
	s_and_b32 m0, s20, 0xffffff
	global_store_dwordx2 v[2:3], v[25:26], off
	s_sendmsg sendmsg(MSG_INTERRUPT)
.LBB7_100:                              ;   in Loop: Header=BB7_28 Depth=1
	s_or_b64 exec, exec, s[18:19]
	v_add_co_u32_e32 v0, vcc, v24, v29
	v_addc_co_u32_e32 v1, vcc, 0, v32, vcc
	s_branch .LBB7_104
.LBB7_101:                              ;   in Loop: Header=BB7_104 Depth=2
	s_or_b64 exec, exec, s[18:19]
	v_readfirstlane_b32 s18, v2
	s_cmp_eq_u32 s18, 0
	s_cbranch_scc1 .LBB7_103
; %bb.102:                              ;   in Loop: Header=BB7_104 Depth=2
	s_sleep 1
	s_cbranch_execnz .LBB7_104
	s_branch .LBB7_106
.LBB7_103:                              ;   in Loop: Header=BB7_28 Depth=1
	s_branch .LBB7_106
.LBB7_104:                              ;   Parent Loop BB7_28 Depth=1
                                        ; =>  This Inner Loop Header: Depth=2
	v_mov_b32_e32 v2, 1
	s_and_saveexec_b64 s[18:19], s[4:5]
	s_cbranch_execz .LBB7_101
; %bb.105:                              ;   in Loop: Header=BB7_104 Depth=2
	global_load_dword v2, v[27:28], off offset:20 glc
	s_waitcnt vmcnt(0)
	buffer_wbinvl1_vol
	v_and_b32_e32 v2, 1, v2
	s_branch .LBB7_101
.LBB7_106:                              ;   in Loop: Header=BB7_28 Depth=1
	global_load_dwordx2 v[0:1], v[0:1], off
	s_and_saveexec_b64 s[18:19], s[4:5]
	s_cbranch_execz .LBB7_27
; %bb.107:                              ;   in Loop: Header=BB7_28 Depth=1
	global_load_dwordx2 v[2:3], v26, s[6:7] offset:40
	global_load_dwordx2 v[14:15], v26, s[6:7] offset:24 glc
	global_load_dwordx2 v[6:7], v26, s[6:7]
	s_waitcnt vmcnt(2)
	v_readfirstlane_b32 s20, v2
	v_readfirstlane_b32 s21, v3
	s_add_u32 s22, s20, 1
	s_addc_u32 s23, s21, 0
	s_add_u32 s4, s22, s16
	s_addc_u32 s5, s23, s17
	s_cmp_eq_u64 s[4:5], 0
	s_cselect_b32 s5, s23, s5
	s_cselect_b32 s4, s22, s4
	s_and_b64 s[16:17], s[4:5], s[20:21]
	s_mul_i32 s17, s17, 24
	s_mul_hi_u32 s20, s16, 24
	s_mul_i32 s16, s16, 24
	s_add_i32 s17, s20, s17
	v_mov_b32_e32 v3, s17
	s_waitcnt vmcnt(0)
	v_add_co_u32_e32 v2, vcc, s16, v6
	v_addc_co_u32_e32 v3, vcc, v7, v3, vcc
	v_mov_b32_e32 v12, s4
	global_store_dwordx2 v[2:3], v[14:15], off
	v_mov_b32_e32 v13, s5
	s_waitcnt vmcnt(0)
	global_atomic_cmpswap_x2 v[12:13], v26, v[12:15], s[6:7] offset:24 glc
	s_waitcnt vmcnt(0)
	v_cmp_ne_u64_e32 vcc, v[12:13], v[14:15]
	s_and_b64 exec, exec, vcc
	s_cbranch_execz .LBB7_27
; %bb.108:                              ;   in Loop: Header=BB7_28 Depth=1
	s_mov_b64 s[16:17], 0
.LBB7_109:                              ;   Parent Loop BB7_28 Depth=1
                                        ; =>  This Inner Loop Header: Depth=2
	s_sleep 1
	global_store_dwordx2 v[2:3], v[12:13], off
	v_mov_b32_e32 v10, s4
	v_mov_b32_e32 v11, s5
	s_waitcnt vmcnt(0)
	global_atomic_cmpswap_x2 v[6:7], v26, v[10:13], s[6:7] offset:24 glc
	s_waitcnt vmcnt(0)
	v_cmp_eq_u64_e32 vcc, v[6:7], v[12:13]
	v_mov_b32_e32 v13, v7
	s_or_b64 s[16:17], vcc, s[16:17]
	v_mov_b32_e32 v12, v6
	s_andn2_b64 exec, exec, s[16:17]
	s_cbranch_execnz .LBB7_109
	s_branch .LBB7_27
.LBB7_110:
                                        ; implicit-def: $vgpr0_vgpr1
	s_cbranch_execnz .LBB7_112
	s_branch .LBB7_138
.LBB7_111:
	s_branch .LBB7_138
.LBB7_112:
	v_readfirstlane_b32 s4, v30
	v_mov_b32_e32 v7, 0
	v_mov_b32_e32 v8, 0
	v_cmp_eq_u32_e64 s[4:5], s4, v30
	s_and_saveexec_b64 s[10:11], s[4:5]
	s_cbranch_execz .LBB7_118
; %bb.113:
	s_waitcnt vmcnt(0)
	v_mov_b32_e32 v0, 0
	global_load_dwordx2 v[9:10], v0, s[6:7] offset:24 glc
	s_waitcnt vmcnt(0)
	buffer_wbinvl1_vol
	global_load_dwordx2 v[1:2], v0, s[6:7] offset:40
	global_load_dwordx2 v[6:7], v0, s[6:7]
	s_waitcnt vmcnt(1)
	v_and_b32_e32 v1, v1, v9
	v_and_b32_e32 v2, v2, v10
	v_mul_lo_u32 v2, v2, 24
	v_mul_hi_u32 v3, v1, 24
	v_mul_lo_u32 v1, v1, 24
	v_add_u32_e32 v2, v3, v2
	s_waitcnt vmcnt(0)
	v_add_co_u32_e32 v1, vcc, v6, v1
	v_addc_co_u32_e32 v2, vcc, v7, v2, vcc
	global_load_dwordx2 v[7:8], v[1:2], off glc
	s_waitcnt vmcnt(0)
	global_atomic_cmpswap_x2 v[7:8], v0, v[7:10], s[6:7] offset:24 glc
	s_waitcnt vmcnt(0)
	buffer_wbinvl1_vol
	v_cmp_ne_u64_e32 vcc, v[7:8], v[9:10]
	s_and_saveexec_b64 s[12:13], vcc
	s_cbranch_execz .LBB7_117
; %bb.114:
	s_mov_b64 s[14:15], 0
.LBB7_115:                              ; =>This Inner Loop Header: Depth=1
	s_sleep 1
	global_load_dwordx2 v[1:2], v0, s[6:7] offset:40
	global_load_dwordx2 v[11:12], v0, s[6:7]
	v_mov_b32_e32 v10, v8
	v_mov_b32_e32 v9, v7
	s_waitcnt vmcnt(1)
	v_and_b32_e32 v1, v1, v9
	s_waitcnt vmcnt(0)
	v_mad_u64_u32 v[6:7], s[16:17], v1, 24, v[11:12]
	v_and_b32_e32 v2, v2, v10
	v_mov_b32_e32 v1, v7
	v_mad_u64_u32 v[1:2], s[16:17], v2, 24, v[1:2]
	v_mov_b32_e32 v7, v1
	global_load_dwordx2 v[7:8], v[6:7], off glc
	s_waitcnt vmcnt(0)
	global_atomic_cmpswap_x2 v[7:8], v0, v[7:10], s[6:7] offset:24 glc
	s_waitcnt vmcnt(0)
	buffer_wbinvl1_vol
	v_cmp_eq_u64_e32 vcc, v[7:8], v[9:10]
	s_or_b64 s[14:15], vcc, s[14:15]
	s_andn2_b64 exec, exec, s[14:15]
	s_cbranch_execnz .LBB7_115
; %bb.116:
	s_or_b64 exec, exec, s[14:15]
.LBB7_117:
	s_or_b64 exec, exec, s[12:13]
.LBB7_118:
	s_or_b64 exec, exec, s[10:11]
	v_mov_b32_e32 v6, 0
	global_load_dwordx2 v[9:10], v6, s[6:7] offset:40
	global_load_dwordx4 v[0:3], v6, s[6:7]
	v_readfirstlane_b32 s11, v8
	v_readfirstlane_b32 s10, v7
	s_mov_b64 s[12:13], exec
	s_waitcnt vmcnt(1)
	v_readfirstlane_b32 s14, v9
	v_readfirstlane_b32 s15, v10
	s_and_b64 s[14:15], s[14:15], s[10:11]
	s_mul_i32 s16, s15, 24
	s_mul_hi_u32 s17, s14, 24
	s_mul_i32 s18, s14, 24
	s_add_i32 s16, s17, s16
	v_mov_b32_e32 v7, s16
	s_waitcnt vmcnt(0)
	v_add_co_u32_e32 v8, vcc, s18, v0
	v_addc_co_u32_e32 v9, vcc, v1, v7, vcc
	s_and_saveexec_b64 s[16:17], s[4:5]
	s_cbranch_execz .LBB7_120
; %bb.119:
	v_mov_b32_e32 v10, s12
	v_mov_b32_e32 v11, s13
	;; [unrolled: 1-line block ×4, first 2 shown]
	global_store_dwordx4 v[8:9], v[10:13], off offset:8
.LBB7_120:
	s_or_b64 exec, exec, s[16:17]
	s_lshl_b64 s[12:13], s[14:15], 12
	v_mov_b32_e32 v7, s13
	v_add_co_u32_e32 v2, vcc, s12, v2
	v_addc_co_u32_e32 v3, vcc, v3, v7, vcc
	s_movk_i32 s12, 0xff1f
	v_and_or_b32 v4, v4, s12, 32
	v_add_co_u32_e32 v10, vcc, v2, v29
	s_mov_b32 s12, 0
	v_mov_b32_e32 v7, v6
	v_readfirstlane_b32 s16, v2
	v_readfirstlane_b32 s17, v3
	v_addc_co_u32_e32 v11, vcc, 0, v3, vcc
	s_mov_b32 s13, s12
	s_mov_b32 s14, s12
	s_mov_b32 s15, s12
	s_nop 0
	global_store_dwordx4 v29, v[4:7], s[16:17]
	v_mov_b32_e32 v2, s12
	v_mov_b32_e32 v3, s13
	;; [unrolled: 1-line block ×4, first 2 shown]
	global_store_dwordx4 v29, v[2:5], s[16:17] offset:16
	global_store_dwordx4 v29, v[2:5], s[16:17] offset:32
	;; [unrolled: 1-line block ×3, first 2 shown]
	s_and_saveexec_b64 s[12:13], s[4:5]
	s_cbranch_execz .LBB7_128
; %bb.121:
	v_mov_b32_e32 v6, 0
	global_load_dwordx2 v[14:15], v6, s[6:7] offset:32 glc
	global_load_dwordx2 v[2:3], v6, s[6:7] offset:40
	v_mov_b32_e32 v12, s10
	v_mov_b32_e32 v13, s11
	s_waitcnt vmcnt(0)
	v_readfirstlane_b32 s14, v2
	v_readfirstlane_b32 s15, v3
	s_and_b64 s[14:15], s[14:15], s[10:11]
	s_mul_i32 s15, s15, 24
	s_mul_hi_u32 s16, s14, 24
	s_mul_i32 s14, s14, 24
	s_add_i32 s15, s16, s15
	v_mov_b32_e32 v2, s15
	v_add_co_u32_e32 v4, vcc, s14, v0
	v_addc_co_u32_e32 v5, vcc, v1, v2, vcc
	global_store_dwordx2 v[4:5], v[14:15], off
	s_waitcnt vmcnt(0)
	global_atomic_cmpswap_x2 v[2:3], v6, v[12:15], s[6:7] offset:32 glc
	s_waitcnt vmcnt(0)
	v_cmp_ne_u64_e32 vcc, v[2:3], v[14:15]
	s_and_saveexec_b64 s[14:15], vcc
	s_cbranch_execz .LBB7_124
; %bb.122:
	s_mov_b64 s[16:17], 0
.LBB7_123:                              ; =>This Inner Loop Header: Depth=1
	s_sleep 1
	global_store_dwordx2 v[4:5], v[2:3], off
	v_mov_b32_e32 v0, s10
	v_mov_b32_e32 v1, s11
	s_waitcnt vmcnt(0)
	global_atomic_cmpswap_x2 v[0:1], v6, v[0:3], s[6:7] offset:32 glc
	s_waitcnt vmcnt(0)
	v_cmp_eq_u64_e32 vcc, v[0:1], v[2:3]
	v_mov_b32_e32 v3, v1
	s_or_b64 s[16:17], vcc, s[16:17]
	v_mov_b32_e32 v2, v0
	s_andn2_b64 exec, exec, s[16:17]
	s_cbranch_execnz .LBB7_123
.LBB7_124:
	s_or_b64 exec, exec, s[14:15]
	v_mov_b32_e32 v3, 0
	global_load_dwordx2 v[0:1], v3, s[6:7] offset:16
	s_mov_b64 s[14:15], exec
	v_mbcnt_lo_u32_b32 v2, s14, 0
	v_mbcnt_hi_u32_b32 v2, s15, v2
	v_cmp_eq_u32_e32 vcc, 0, v2
	s_and_saveexec_b64 s[16:17], vcc
	s_cbranch_execz .LBB7_126
; %bb.125:
	s_bcnt1_i32_b64 s14, s[14:15]
	v_mov_b32_e32 v2, s14
	s_waitcnt vmcnt(0)
	global_atomic_add_x2 v[0:1], v[2:3], off offset:8
.LBB7_126:
	s_or_b64 exec, exec, s[16:17]
	s_waitcnt vmcnt(0)
	global_load_dwordx2 v[2:3], v[0:1], off offset:16
	s_waitcnt vmcnt(0)
	v_cmp_eq_u64_e32 vcc, 0, v[2:3]
	s_cbranch_vccnz .LBB7_128
; %bb.127:
	global_load_dword v0, v[0:1], off offset:24
	v_mov_b32_e32 v1, 0
	s_waitcnt vmcnt(0)
	v_readfirstlane_b32 s14, v0
	s_and_b32 m0, s14, 0xffffff
	global_store_dwordx2 v[2:3], v[0:1], off
	s_sendmsg sendmsg(MSG_INTERRUPT)
.LBB7_128:
	s_or_b64 exec, exec, s[12:13]
	s_branch .LBB7_132
.LBB7_129:                              ;   in Loop: Header=BB7_132 Depth=1
	s_or_b64 exec, exec, s[12:13]
	v_readfirstlane_b32 s12, v0
	s_cmp_eq_u32 s12, 0
	s_cbranch_scc1 .LBB7_131
; %bb.130:                              ;   in Loop: Header=BB7_132 Depth=1
	s_sleep 1
	s_cbranch_execnz .LBB7_132
	s_branch .LBB7_134
.LBB7_131:
	s_branch .LBB7_134
.LBB7_132:                              ; =>This Inner Loop Header: Depth=1
	v_mov_b32_e32 v0, 1
	s_and_saveexec_b64 s[12:13], s[4:5]
	s_cbranch_execz .LBB7_129
; %bb.133:                              ;   in Loop: Header=BB7_132 Depth=1
	global_load_dword v0, v[8:9], off offset:20 glc
	s_waitcnt vmcnt(0)
	buffer_wbinvl1_vol
	v_and_b32_e32 v0, 1, v0
	s_branch .LBB7_129
.LBB7_134:
	global_load_dwordx2 v[0:1], v[10:11], off
	s_and_saveexec_b64 s[12:13], s[4:5]
	s_cbranch_execz .LBB7_137
; %bb.135:
	v_mov_b32_e32 v8, 0
	global_load_dwordx2 v[2:3], v8, s[6:7] offset:40
	global_load_dwordx2 v[11:12], v8, s[6:7] offset:24 glc
	global_load_dwordx2 v[4:5], v8, s[6:7]
	s_waitcnt vmcnt(2)
	v_readfirstlane_b32 s14, v2
	v_readfirstlane_b32 s15, v3
	s_add_u32 s16, s14, 1
	s_addc_u32 s17, s15, 0
	s_add_u32 s4, s16, s10
	s_addc_u32 s5, s17, s11
	s_cmp_eq_u64 s[4:5], 0
	s_cselect_b32 s5, s17, s5
	s_cselect_b32 s4, s16, s4
	s_and_b64 s[10:11], s[4:5], s[14:15]
	s_mul_i32 s11, s11, 24
	s_mul_hi_u32 s14, s10, 24
	s_mul_i32 s10, s10, 24
	s_add_i32 s11, s14, s11
	v_mov_b32_e32 v2, s11
	s_waitcnt vmcnt(0)
	v_add_co_u32_e32 v6, vcc, s10, v4
	v_addc_co_u32_e32 v7, vcc, v5, v2, vcc
	v_mov_b32_e32 v9, s4
	global_store_dwordx2 v[6:7], v[11:12], off
	v_mov_b32_e32 v10, s5
	s_waitcnt vmcnt(0)
	global_atomic_cmpswap_x2 v[4:5], v8, v[9:12], s[6:7] offset:24 glc
	s_mov_b64 s[10:11], 0
	s_waitcnt vmcnt(0)
	v_cmp_ne_u64_e32 vcc, v[4:5], v[11:12]
	s_and_b64 exec, exec, vcc
	s_cbranch_execz .LBB7_137
.LBB7_136:                              ; =>This Inner Loop Header: Depth=1
	s_sleep 1
	global_store_dwordx2 v[6:7], v[4:5], off
	v_mov_b32_e32 v2, s4
	v_mov_b32_e32 v3, s5
	s_waitcnt vmcnt(0)
	global_atomic_cmpswap_x2 v[2:3], v8, v[2:5], s[6:7] offset:24 glc
	s_waitcnt vmcnt(0)
	v_cmp_eq_u64_e32 vcc, v[2:3], v[4:5]
	v_mov_b32_e32 v5, v3
	s_or_b64 s[10:11], vcc, s[10:11]
	v_mov_b32_e32 v4, v2
	s_andn2_b64 exec, exec, s[10:11]
	s_cbranch_execnz .LBB7_136
.LBB7_137:
	s_or_b64 exec, exec, s[12:13]
.LBB7_138:
	s_getpc_b64 s[10:11]
	s_add_u32 s10, s10, .str.3@rel32@lo+4
	s_addc_u32 s11, s11, .str.3@rel32@hi+12
	s_cmp_lg_u64 s[10:11], 0
	s_cselect_b64 s[4:5], -1, 0
	s_cmp_eq_u64 s[10:11], 0
	s_mov_b64 s[10:11], 0
	s_cbranch_scc1 .LBB7_142
; %bb.139:
	v_mov_b32_e32 v2, 0
	s_getpc_b64 s[10:11]
	s_add_u32 s10, s10, .str.3@rel32@lo+3
	s_addc_u32 s11, s11, .str.3@rel32@hi+11
.LBB7_140:                              ; =>This Inner Loop Header: Depth=1
	global_load_ubyte v3, v2, s[10:11] offset:1
	s_add_u32 s12, s10, 1
	s_addc_u32 s13, s11, 0
	s_mov_b64 s[10:11], s[12:13]
	s_waitcnt vmcnt(0)
	v_cmp_ne_u32_e32 vcc, 0, v3
	s_cbranch_vccnz .LBB7_140
; %bb.141:
	s_getpc_b64 s[10:11]
	s_add_u32 s10, s10, .str.3@rel32@lo+4
	s_addc_u32 s11, s11, .str.3@rel32@hi+12
	s_sub_u32 s10, s12, s10
	s_subb_u32 s11, s13, s11
	s_add_u32 s10, s10, 1
	s_addc_u32 s11, s11, 0
.LBB7_142:
	s_and_b64 vcc, exec, s[4:5]
	s_cbranch_vccz .LBB7_227
; %bb.143:
	s_waitcnt vmcnt(0)
	v_and_b32_e32 v31, 2, v0
	v_mov_b32_e32 v26, 0
	v_and_b32_e32 v2, -3, v0
	v_mov_b32_e32 v3, v1
	v_mov_b32_e32 v8, 2
	;; [unrolled: 1-line block ×3, first 2 shown]
	s_getpc_b64 s[12:13]
	s_add_u32 s12, s12, .str.3@rel32@lo+4
	s_addc_u32 s13, s13, .str.3@rel32@hi+12
	s_branch .LBB7_145
.LBB7_144:                              ;   in Loop: Header=BB7_145 Depth=1
	s_or_b64 exec, exec, s[18:19]
	s_sub_u32 s10, s10, s14
	s_subb_u32 s11, s11, s15
	s_add_u32 s12, s12, s14
	s_addc_u32 s13, s13, s15
	s_cmp_lg_u64 s[10:11], 0
	s_cbranch_scc0 .LBB7_228
.LBB7_145:                              ; =>This Loop Header: Depth=1
                                        ;     Child Loop BB7_148 Depth 2
                                        ;     Child Loop BB7_156 Depth 2
	;; [unrolled: 1-line block ×11, first 2 shown]
	v_cmp_lt_u64_e64 s[4:5], s[10:11], 56
	v_cmp_gt_u64_e64 s[16:17], s[10:11], 7
	s_and_b64 s[4:5], s[4:5], exec
	s_cselect_b32 s15, s11, 0
	s_cselect_b32 s14, s10, 56
	s_add_u32 s4, s12, 8
	s_addc_u32 s5, s13, 0
	s_and_b64 vcc, exec, s[16:17]
	s_cbranch_vccnz .LBB7_149
; %bb.146:                              ;   in Loop: Header=BB7_145 Depth=1
	s_cmp_eq_u64 s[10:11], 0
	s_cbranch_scc1 .LBB7_150
; %bb.147:                              ;   in Loop: Header=BB7_145 Depth=1
	v_mov_b32_e32 v4, 0
	s_lshl_b64 s[4:5], s[14:15], 3
	s_mov_b64 s[16:17], 0
	v_mov_b32_e32 v5, 0
	s_mov_b64 s[18:19], s[12:13]
.LBB7_148:                              ;   Parent Loop BB7_145 Depth=1
                                        ; =>  This Inner Loop Header: Depth=2
	global_load_ubyte v6, v26, s[18:19]
	s_waitcnt vmcnt(0)
	v_and_b32_e32 v25, 0xffff, v6
	v_lshlrev_b64 v[6:7], s16, v[25:26]
	s_add_u32 s16, s16, 8
	s_addc_u32 s17, s17, 0
	s_add_u32 s18, s18, 1
	s_addc_u32 s19, s19, 0
	v_or_b32_e32 v4, v6, v4
	s_cmp_lg_u32 s4, s16
	v_or_b32_e32 v5, v7, v5
	s_cbranch_scc1 .LBB7_148
	s_branch .LBB7_151
.LBB7_149:                              ;   in Loop: Header=BB7_145 Depth=1
	s_mov_b32 s20, 0
	s_branch .LBB7_152
.LBB7_150:                              ;   in Loop: Header=BB7_145 Depth=1
	v_mov_b32_e32 v4, 0
	v_mov_b32_e32 v5, 0
.LBB7_151:                              ;   in Loop: Header=BB7_145 Depth=1
	s_mov_b64 s[4:5], s[12:13]
	s_mov_b32 s20, 0
	s_cbranch_execnz .LBB7_153
.LBB7_152:                              ;   in Loop: Header=BB7_145 Depth=1
	global_load_dwordx2 v[4:5], v26, s[12:13]
	s_add_i32 s20, s14, -8
.LBB7_153:                              ;   in Loop: Header=BB7_145 Depth=1
	s_add_u32 s16, s4, 8
	s_addc_u32 s17, s5, 0
	s_cmp_gt_u32 s20, 7
	s_cbranch_scc1 .LBB7_157
; %bb.154:                              ;   in Loop: Header=BB7_145 Depth=1
	s_cmp_eq_u32 s20, 0
	s_cbranch_scc1 .LBB7_158
; %bb.155:                              ;   in Loop: Header=BB7_145 Depth=1
	v_mov_b32_e32 v10, 0
	s_mov_b64 s[16:17], 0
	v_mov_b32_e32 v11, 0
	s_mov_b64 s[18:19], 0
.LBB7_156:                              ;   Parent Loop BB7_145 Depth=1
                                        ; =>  This Inner Loop Header: Depth=2
	s_add_u32 s22, s4, s18
	s_addc_u32 s23, s5, s19
	global_load_ubyte v6, v26, s[22:23]
	s_add_u32 s18, s18, 1
	s_addc_u32 s19, s19, 0
	s_waitcnt vmcnt(0)
	v_and_b32_e32 v25, 0xffff, v6
	v_lshlrev_b64 v[6:7], s16, v[25:26]
	s_add_u32 s16, s16, 8
	s_addc_u32 s17, s17, 0
	v_or_b32_e32 v10, v6, v10
	s_cmp_lg_u32 s20, s18
	v_or_b32_e32 v11, v7, v11
	s_cbranch_scc1 .LBB7_156
	s_branch .LBB7_159
.LBB7_157:                              ;   in Loop: Header=BB7_145 Depth=1
                                        ; implicit-def: $vgpr10_vgpr11
	s_mov_b32 s21, 0
	s_branch .LBB7_160
.LBB7_158:                              ;   in Loop: Header=BB7_145 Depth=1
	v_mov_b32_e32 v10, 0
	v_mov_b32_e32 v11, 0
.LBB7_159:                              ;   in Loop: Header=BB7_145 Depth=1
	s_mov_b64 s[16:17], s[4:5]
	s_mov_b32 s21, 0
	s_cbranch_execnz .LBB7_161
.LBB7_160:                              ;   in Loop: Header=BB7_145 Depth=1
	global_load_dwordx2 v[10:11], v26, s[4:5]
	s_add_i32 s21, s20, -8
.LBB7_161:                              ;   in Loop: Header=BB7_145 Depth=1
	s_add_u32 s4, s16, 8
	s_addc_u32 s5, s17, 0
	s_cmp_gt_u32 s21, 7
	s_cbranch_scc1 .LBB7_165
; %bb.162:                              ;   in Loop: Header=BB7_145 Depth=1
	s_cmp_eq_u32 s21, 0
	s_cbranch_scc1 .LBB7_166
; %bb.163:                              ;   in Loop: Header=BB7_145 Depth=1
	v_mov_b32_e32 v12, 0
	s_mov_b64 s[4:5], 0
	v_mov_b32_e32 v13, 0
	s_mov_b64 s[18:19], 0
.LBB7_164:                              ;   Parent Loop BB7_145 Depth=1
                                        ; =>  This Inner Loop Header: Depth=2
	s_add_u32 s22, s16, s18
	s_addc_u32 s23, s17, s19
	global_load_ubyte v6, v26, s[22:23]
	s_add_u32 s18, s18, 1
	s_addc_u32 s19, s19, 0
	s_waitcnt vmcnt(0)
	v_and_b32_e32 v25, 0xffff, v6
	v_lshlrev_b64 v[6:7], s4, v[25:26]
	s_add_u32 s4, s4, 8
	s_addc_u32 s5, s5, 0
	v_or_b32_e32 v12, v6, v12
	s_cmp_lg_u32 s21, s18
	v_or_b32_e32 v13, v7, v13
	s_cbranch_scc1 .LBB7_164
	s_branch .LBB7_167
.LBB7_165:                              ;   in Loop: Header=BB7_145 Depth=1
	s_mov_b32 s20, 0
	s_branch .LBB7_168
.LBB7_166:                              ;   in Loop: Header=BB7_145 Depth=1
	v_mov_b32_e32 v12, 0
	v_mov_b32_e32 v13, 0
.LBB7_167:                              ;   in Loop: Header=BB7_145 Depth=1
	s_mov_b64 s[4:5], s[16:17]
	s_mov_b32 s20, 0
	s_cbranch_execnz .LBB7_169
.LBB7_168:                              ;   in Loop: Header=BB7_145 Depth=1
	global_load_dwordx2 v[12:13], v26, s[16:17]
	s_add_i32 s20, s21, -8
.LBB7_169:                              ;   in Loop: Header=BB7_145 Depth=1
	s_add_u32 s16, s4, 8
	s_addc_u32 s17, s5, 0
	s_cmp_gt_u32 s20, 7
	s_cbranch_scc1 .LBB7_173
; %bb.170:                              ;   in Loop: Header=BB7_145 Depth=1
	s_cmp_eq_u32 s20, 0
	s_cbranch_scc1 .LBB7_174
; %bb.171:                              ;   in Loop: Header=BB7_145 Depth=1
	v_mov_b32_e32 v14, 0
	s_mov_b64 s[16:17], 0
	v_mov_b32_e32 v15, 0
	s_mov_b64 s[18:19], 0
.LBB7_172:                              ;   Parent Loop BB7_145 Depth=1
                                        ; =>  This Inner Loop Header: Depth=2
	s_add_u32 s22, s4, s18
	s_addc_u32 s23, s5, s19
	global_load_ubyte v6, v26, s[22:23]
	s_add_u32 s18, s18, 1
	s_addc_u32 s19, s19, 0
	s_waitcnt vmcnt(0)
	v_and_b32_e32 v25, 0xffff, v6
	v_lshlrev_b64 v[6:7], s16, v[25:26]
	s_add_u32 s16, s16, 8
	s_addc_u32 s17, s17, 0
	v_or_b32_e32 v14, v6, v14
	s_cmp_lg_u32 s20, s18
	v_or_b32_e32 v15, v7, v15
	s_cbranch_scc1 .LBB7_172
	s_branch .LBB7_175
.LBB7_173:                              ;   in Loop: Header=BB7_145 Depth=1
                                        ; implicit-def: $vgpr14_vgpr15
	s_mov_b32 s21, 0
	s_branch .LBB7_176
.LBB7_174:                              ;   in Loop: Header=BB7_145 Depth=1
	v_mov_b32_e32 v14, 0
	v_mov_b32_e32 v15, 0
.LBB7_175:                              ;   in Loop: Header=BB7_145 Depth=1
	s_mov_b64 s[16:17], s[4:5]
	s_mov_b32 s21, 0
	s_cbranch_execnz .LBB7_177
.LBB7_176:                              ;   in Loop: Header=BB7_145 Depth=1
	global_load_dwordx2 v[14:15], v26, s[4:5]
	s_add_i32 s21, s20, -8
.LBB7_177:                              ;   in Loop: Header=BB7_145 Depth=1
	s_add_u32 s4, s16, 8
	s_addc_u32 s5, s17, 0
	s_cmp_gt_u32 s21, 7
	s_cbranch_scc1 .LBB7_181
; %bb.178:                              ;   in Loop: Header=BB7_145 Depth=1
	s_cmp_eq_u32 s21, 0
	s_cbranch_scc1 .LBB7_182
; %bb.179:                              ;   in Loop: Header=BB7_145 Depth=1
	v_mov_b32_e32 v16, 0
	s_mov_b64 s[4:5], 0
	v_mov_b32_e32 v17, 0
	s_mov_b64 s[18:19], 0
.LBB7_180:                              ;   Parent Loop BB7_145 Depth=1
                                        ; =>  This Inner Loop Header: Depth=2
	s_add_u32 s22, s16, s18
	s_addc_u32 s23, s17, s19
	global_load_ubyte v6, v26, s[22:23]
	s_add_u32 s18, s18, 1
	s_addc_u32 s19, s19, 0
	s_waitcnt vmcnt(0)
	v_and_b32_e32 v25, 0xffff, v6
	v_lshlrev_b64 v[6:7], s4, v[25:26]
	s_add_u32 s4, s4, 8
	s_addc_u32 s5, s5, 0
	v_or_b32_e32 v16, v6, v16
	s_cmp_lg_u32 s21, s18
	v_or_b32_e32 v17, v7, v17
	s_cbranch_scc1 .LBB7_180
	s_branch .LBB7_183
.LBB7_181:                              ;   in Loop: Header=BB7_145 Depth=1
	s_mov_b32 s20, 0
	s_branch .LBB7_184
.LBB7_182:                              ;   in Loop: Header=BB7_145 Depth=1
	v_mov_b32_e32 v16, 0
	v_mov_b32_e32 v17, 0
.LBB7_183:                              ;   in Loop: Header=BB7_145 Depth=1
	s_mov_b64 s[4:5], s[16:17]
	s_mov_b32 s20, 0
	s_cbranch_execnz .LBB7_185
.LBB7_184:                              ;   in Loop: Header=BB7_145 Depth=1
	global_load_dwordx2 v[16:17], v26, s[16:17]
	s_add_i32 s20, s21, -8
.LBB7_185:                              ;   in Loop: Header=BB7_145 Depth=1
	s_add_u32 s16, s4, 8
	s_addc_u32 s17, s5, 0
	s_cmp_gt_u32 s20, 7
	s_cbranch_scc1 .LBB7_189
; %bb.186:                              ;   in Loop: Header=BB7_145 Depth=1
	s_cmp_eq_u32 s20, 0
	s_cbranch_scc1 .LBB7_190
; %bb.187:                              ;   in Loop: Header=BB7_145 Depth=1
	v_mov_b32_e32 v18, 0
	s_mov_b64 s[16:17], 0
	v_mov_b32_e32 v19, 0
	s_mov_b64 s[18:19], 0
.LBB7_188:                              ;   Parent Loop BB7_145 Depth=1
                                        ; =>  This Inner Loop Header: Depth=2
	s_add_u32 s22, s4, s18
	s_addc_u32 s23, s5, s19
	global_load_ubyte v6, v26, s[22:23]
	s_add_u32 s18, s18, 1
	s_addc_u32 s19, s19, 0
	s_waitcnt vmcnt(0)
	v_and_b32_e32 v25, 0xffff, v6
	v_lshlrev_b64 v[6:7], s16, v[25:26]
	s_add_u32 s16, s16, 8
	s_addc_u32 s17, s17, 0
	v_or_b32_e32 v18, v6, v18
	s_cmp_lg_u32 s20, s18
	v_or_b32_e32 v19, v7, v19
	s_cbranch_scc1 .LBB7_188
	s_branch .LBB7_191
.LBB7_189:                              ;   in Loop: Header=BB7_145 Depth=1
                                        ; implicit-def: $vgpr18_vgpr19
	s_mov_b32 s21, 0
	s_branch .LBB7_192
.LBB7_190:                              ;   in Loop: Header=BB7_145 Depth=1
	v_mov_b32_e32 v18, 0
	v_mov_b32_e32 v19, 0
.LBB7_191:                              ;   in Loop: Header=BB7_145 Depth=1
	s_mov_b64 s[16:17], s[4:5]
	s_mov_b32 s21, 0
	s_cbranch_execnz .LBB7_193
.LBB7_192:                              ;   in Loop: Header=BB7_145 Depth=1
	global_load_dwordx2 v[18:19], v26, s[4:5]
	s_add_i32 s21, s20, -8
.LBB7_193:                              ;   in Loop: Header=BB7_145 Depth=1
	s_cmp_gt_u32 s21, 7
	s_cbranch_scc1 .LBB7_197
; %bb.194:                              ;   in Loop: Header=BB7_145 Depth=1
	s_cmp_eq_u32 s21, 0
	s_cbranch_scc1 .LBB7_198
; %bb.195:                              ;   in Loop: Header=BB7_145 Depth=1
	v_mov_b32_e32 v20, 0
	s_mov_b64 s[4:5], 0
	v_mov_b32_e32 v21, 0
	s_mov_b64 s[18:19], s[16:17]
.LBB7_196:                              ;   Parent Loop BB7_145 Depth=1
                                        ; =>  This Inner Loop Header: Depth=2
	global_load_ubyte v6, v26, s[18:19]
	s_add_i32 s21, s21, -1
	s_waitcnt vmcnt(0)
	v_and_b32_e32 v25, 0xffff, v6
	v_lshlrev_b64 v[6:7], s4, v[25:26]
	s_add_u32 s4, s4, 8
	s_addc_u32 s5, s5, 0
	s_add_u32 s18, s18, 1
	s_addc_u32 s19, s19, 0
	v_or_b32_e32 v20, v6, v20
	s_cmp_lg_u32 s21, 0
	v_or_b32_e32 v21, v7, v21
	s_cbranch_scc1 .LBB7_196
	s_branch .LBB7_199
.LBB7_197:                              ;   in Loop: Header=BB7_145 Depth=1
	s_branch .LBB7_200
.LBB7_198:                              ;   in Loop: Header=BB7_145 Depth=1
	v_mov_b32_e32 v20, 0
	v_mov_b32_e32 v21, 0
.LBB7_199:                              ;   in Loop: Header=BB7_145 Depth=1
	s_cbranch_execnz .LBB7_201
.LBB7_200:                              ;   in Loop: Header=BB7_145 Depth=1
	global_load_dwordx2 v[20:21], v26, s[16:17]
.LBB7_201:                              ;   in Loop: Header=BB7_145 Depth=1
	v_readfirstlane_b32 s4, v30
	v_mov_b32_e32 v6, 0
	v_mov_b32_e32 v7, 0
	v_cmp_eq_u32_e64 s[4:5], s4, v30
	s_and_saveexec_b64 s[16:17], s[4:5]
	s_cbranch_execz .LBB7_207
; %bb.202:                              ;   in Loop: Header=BB7_145 Depth=1
	global_load_dwordx2 v[24:25], v26, s[6:7] offset:24 glc
	s_waitcnt vmcnt(0)
	buffer_wbinvl1_vol
	global_load_dwordx2 v[6:7], v26, s[6:7] offset:40
	global_load_dwordx2 v[22:23], v26, s[6:7]
	s_waitcnt vmcnt(1)
	v_and_b32_e32 v6, v6, v24
	v_and_b32_e32 v7, v7, v25
	v_mul_lo_u32 v7, v7, 24
	v_mul_hi_u32 v27, v6, 24
	v_mul_lo_u32 v6, v6, 24
	v_add_u32_e32 v7, v27, v7
	s_waitcnt vmcnt(0)
	v_add_co_u32_e32 v6, vcc, v22, v6
	v_addc_co_u32_e32 v7, vcc, v23, v7, vcc
	global_load_dwordx2 v[22:23], v[6:7], off glc
	s_waitcnt vmcnt(0)
	global_atomic_cmpswap_x2 v[6:7], v26, v[22:25], s[6:7] offset:24 glc
	s_waitcnt vmcnt(0)
	buffer_wbinvl1_vol
	v_cmp_ne_u64_e32 vcc, v[6:7], v[24:25]
	s_and_saveexec_b64 s[18:19], vcc
	s_cbranch_execz .LBB7_206
; %bb.203:                              ;   in Loop: Header=BB7_145 Depth=1
	s_mov_b64 s[20:21], 0
.LBB7_204:                              ;   Parent Loop BB7_145 Depth=1
                                        ; =>  This Inner Loop Header: Depth=2
	s_sleep 1
	global_load_dwordx2 v[22:23], v26, s[6:7] offset:40
	global_load_dwordx2 v[27:28], v26, s[6:7]
	v_mov_b32_e32 v25, v7
	v_mov_b32_e32 v24, v6
	s_waitcnt vmcnt(1)
	v_and_b32_e32 v6, v22, v24
	s_waitcnt vmcnt(0)
	v_mad_u64_u32 v[6:7], s[22:23], v6, 24, v[27:28]
	v_and_b32_e32 v22, v23, v25
	v_mad_u64_u32 v[22:23], s[22:23], v22, 24, v[7:8]
	v_mov_b32_e32 v7, v22
	global_load_dwordx2 v[22:23], v[6:7], off glc
	s_waitcnt vmcnt(0)
	global_atomic_cmpswap_x2 v[6:7], v26, v[22:25], s[6:7] offset:24 glc
	s_waitcnt vmcnt(0)
	buffer_wbinvl1_vol
	v_cmp_eq_u64_e32 vcc, v[6:7], v[24:25]
	s_or_b64 s[20:21], vcc, s[20:21]
	s_andn2_b64 exec, exec, s[20:21]
	s_cbranch_execnz .LBB7_204
; %bb.205:                              ;   in Loop: Header=BB7_145 Depth=1
	s_or_b64 exec, exec, s[20:21]
.LBB7_206:                              ;   in Loop: Header=BB7_145 Depth=1
	s_or_b64 exec, exec, s[18:19]
.LBB7_207:                              ;   in Loop: Header=BB7_145 Depth=1
	s_or_b64 exec, exec, s[16:17]
	global_load_dwordx2 v[27:28], v26, s[6:7] offset:40
	global_load_dwordx4 v[22:25], v26, s[6:7]
	v_readfirstlane_b32 s17, v7
	v_readfirstlane_b32 s16, v6
	s_mov_b64 s[18:19], exec
	s_waitcnt vmcnt(1)
	v_readfirstlane_b32 s20, v27
	v_readfirstlane_b32 s21, v28
	s_and_b64 s[20:21], s[20:21], s[16:17]
	s_mul_i32 s22, s21, 24
	s_mul_hi_u32 s23, s20, 24
	s_mul_i32 s24, s20, 24
	s_add_i32 s22, s23, s22
	v_mov_b32_e32 v6, s22
	s_waitcnt vmcnt(0)
	v_add_co_u32_e32 v27, vcc, s24, v22
	v_addc_co_u32_e32 v28, vcc, v23, v6, vcc
	s_and_saveexec_b64 s[22:23], s[4:5]
	s_cbranch_execz .LBB7_209
; %bb.208:                              ;   in Loop: Header=BB7_145 Depth=1
	v_mov_b32_e32 v6, s18
	v_mov_b32_e32 v7, s19
	global_store_dwordx4 v[27:28], v[6:9], off offset:8
.LBB7_209:                              ;   in Loop: Header=BB7_145 Depth=1
	s_or_b64 exec, exec, s[22:23]
	s_lshl_b64 s[18:19], s[20:21], 12
	v_mov_b32_e32 v6, s19
	v_add_co_u32_e32 v24, vcc, s18, v24
	v_addc_co_u32_e32 v32, vcc, v25, v6, vcc
	v_cmp_lt_u64_e64 vcc, s[10:11], 57
	s_lshl_b32 s18, s14, 2
	v_cndmask_b32_e32 v6, 0, v31, vcc
	s_add_i32 s18, s18, 28
	v_and_b32_e32 v2, 0xffffff1f, v2
	s_and_b32 s18, s18, 0x1e0
	v_or_b32_e32 v2, v2, v6
	v_or_b32_e32 v2, s18, v2
	v_readfirstlane_b32 s18, v24
	v_readfirstlane_b32 s19, v32
	s_nop 4
	global_store_dwordx4 v29, v[2:5], s[18:19]
	global_store_dwordx4 v29, v[10:13], s[18:19] offset:16
	global_store_dwordx4 v29, v[14:17], s[18:19] offset:32
	;; [unrolled: 1-line block ×3, first 2 shown]
	s_and_saveexec_b64 s[18:19], s[4:5]
	s_cbranch_execz .LBB7_217
; %bb.210:                              ;   in Loop: Header=BB7_145 Depth=1
	global_load_dwordx2 v[12:13], v26, s[6:7] offset:32 glc
	global_load_dwordx2 v[2:3], v26, s[6:7] offset:40
	v_mov_b32_e32 v10, s16
	v_mov_b32_e32 v11, s17
	s_waitcnt vmcnt(0)
	v_readfirstlane_b32 s20, v2
	v_readfirstlane_b32 s21, v3
	s_and_b64 s[20:21], s[20:21], s[16:17]
	s_mul_i32 s21, s21, 24
	s_mul_hi_u32 s22, s20, 24
	s_mul_i32 s20, s20, 24
	s_add_i32 s21, s22, s21
	v_mov_b32_e32 v2, s21
	v_add_co_u32_e32 v6, vcc, s20, v22
	v_addc_co_u32_e32 v7, vcc, v23, v2, vcc
	global_store_dwordx2 v[6:7], v[12:13], off
	s_waitcnt vmcnt(0)
	global_atomic_cmpswap_x2 v[4:5], v26, v[10:13], s[6:7] offset:32 glc
	s_waitcnt vmcnt(0)
	v_cmp_ne_u64_e32 vcc, v[4:5], v[12:13]
	s_and_saveexec_b64 s[20:21], vcc
	s_cbranch_execz .LBB7_213
; %bb.211:                              ;   in Loop: Header=BB7_145 Depth=1
	s_mov_b64 s[22:23], 0
.LBB7_212:                              ;   Parent Loop BB7_145 Depth=1
                                        ; =>  This Inner Loop Header: Depth=2
	s_sleep 1
	global_store_dwordx2 v[6:7], v[4:5], off
	v_mov_b32_e32 v2, s16
	v_mov_b32_e32 v3, s17
	s_waitcnt vmcnt(0)
	global_atomic_cmpswap_x2 v[2:3], v26, v[2:5], s[6:7] offset:32 glc
	s_waitcnt vmcnt(0)
	v_cmp_eq_u64_e32 vcc, v[2:3], v[4:5]
	v_mov_b32_e32 v5, v3
	s_or_b64 s[22:23], vcc, s[22:23]
	v_mov_b32_e32 v4, v2
	s_andn2_b64 exec, exec, s[22:23]
	s_cbranch_execnz .LBB7_212
.LBB7_213:                              ;   in Loop: Header=BB7_145 Depth=1
	s_or_b64 exec, exec, s[20:21]
	global_load_dwordx2 v[2:3], v26, s[6:7] offset:16
	s_mov_b64 s[22:23], exec
	v_mbcnt_lo_u32_b32 v4, s22, 0
	v_mbcnt_hi_u32_b32 v4, s23, v4
	v_cmp_eq_u32_e32 vcc, 0, v4
	s_and_saveexec_b64 s[20:21], vcc
	s_cbranch_execz .LBB7_215
; %bb.214:                              ;   in Loop: Header=BB7_145 Depth=1
	s_bcnt1_i32_b64 s22, s[22:23]
	v_mov_b32_e32 v25, s22
	s_waitcnt vmcnt(0)
	global_atomic_add_x2 v[2:3], v[25:26], off offset:8
.LBB7_215:                              ;   in Loop: Header=BB7_145 Depth=1
	s_or_b64 exec, exec, s[20:21]
	s_waitcnt vmcnt(0)
	global_load_dwordx2 v[4:5], v[2:3], off offset:16
	s_waitcnt vmcnt(0)
	v_cmp_eq_u64_e32 vcc, 0, v[4:5]
	s_cbranch_vccnz .LBB7_217
; %bb.216:                              ;   in Loop: Header=BB7_145 Depth=1
	global_load_dword v25, v[2:3], off offset:24
	s_waitcnt vmcnt(0)
	v_readfirstlane_b32 s20, v25
	s_and_b32 m0, s20, 0xffffff
	global_store_dwordx2 v[4:5], v[25:26], off
	s_sendmsg sendmsg(MSG_INTERRUPT)
.LBB7_217:                              ;   in Loop: Header=BB7_145 Depth=1
	s_or_b64 exec, exec, s[18:19]
	v_add_co_u32_e32 v2, vcc, v24, v29
	v_addc_co_u32_e32 v3, vcc, 0, v32, vcc
	s_branch .LBB7_221
.LBB7_218:                              ;   in Loop: Header=BB7_221 Depth=2
	s_or_b64 exec, exec, s[18:19]
	v_readfirstlane_b32 s18, v4
	s_cmp_eq_u32 s18, 0
	s_cbranch_scc1 .LBB7_220
; %bb.219:                              ;   in Loop: Header=BB7_221 Depth=2
	s_sleep 1
	s_cbranch_execnz .LBB7_221
	s_branch .LBB7_223
.LBB7_220:                              ;   in Loop: Header=BB7_145 Depth=1
	s_branch .LBB7_223
.LBB7_221:                              ;   Parent Loop BB7_145 Depth=1
                                        ; =>  This Inner Loop Header: Depth=2
	v_mov_b32_e32 v4, 1
	s_and_saveexec_b64 s[18:19], s[4:5]
	s_cbranch_execz .LBB7_218
; %bb.222:                              ;   in Loop: Header=BB7_221 Depth=2
	global_load_dword v4, v[27:28], off offset:20 glc
	s_waitcnt vmcnt(0)
	buffer_wbinvl1_vol
	v_and_b32_e32 v4, 1, v4
	s_branch .LBB7_218
.LBB7_223:                              ;   in Loop: Header=BB7_145 Depth=1
	global_load_dwordx2 v[2:3], v[2:3], off
	s_and_saveexec_b64 s[18:19], s[4:5]
	s_cbranch_execz .LBB7_144
; %bb.224:                              ;   in Loop: Header=BB7_145 Depth=1
	global_load_dwordx2 v[4:5], v26, s[6:7] offset:40
	global_load_dwordx2 v[14:15], v26, s[6:7] offset:24 glc
	global_load_dwordx2 v[6:7], v26, s[6:7]
	s_waitcnt vmcnt(2)
	v_readfirstlane_b32 s20, v4
	v_readfirstlane_b32 s21, v5
	s_add_u32 s22, s20, 1
	s_addc_u32 s23, s21, 0
	s_add_u32 s4, s22, s16
	s_addc_u32 s5, s23, s17
	s_cmp_eq_u64 s[4:5], 0
	s_cselect_b32 s5, s23, s5
	s_cselect_b32 s4, s22, s4
	s_and_b64 s[16:17], s[4:5], s[20:21]
	s_mul_i32 s17, s17, 24
	s_mul_hi_u32 s20, s16, 24
	s_mul_i32 s16, s16, 24
	s_add_i32 s17, s20, s17
	v_mov_b32_e32 v4, s17
	s_waitcnt vmcnt(0)
	v_add_co_u32_e32 v10, vcc, s16, v6
	v_addc_co_u32_e32 v11, vcc, v7, v4, vcc
	v_mov_b32_e32 v12, s4
	global_store_dwordx2 v[10:11], v[14:15], off
	v_mov_b32_e32 v13, s5
	s_waitcnt vmcnt(0)
	global_atomic_cmpswap_x2 v[6:7], v26, v[12:15], s[6:7] offset:24 glc
	s_waitcnt vmcnt(0)
	v_cmp_ne_u64_e32 vcc, v[6:7], v[14:15]
	s_and_b64 exec, exec, vcc
	s_cbranch_execz .LBB7_144
; %bb.225:                              ;   in Loop: Header=BB7_145 Depth=1
	s_mov_b64 s[16:17], 0
.LBB7_226:                              ;   Parent Loop BB7_145 Depth=1
                                        ; =>  This Inner Loop Header: Depth=2
	s_sleep 1
	global_store_dwordx2 v[10:11], v[6:7], off
	v_mov_b32_e32 v4, s4
	v_mov_b32_e32 v5, s5
	s_waitcnt vmcnt(0)
	global_atomic_cmpswap_x2 v[4:5], v26, v[4:7], s[6:7] offset:24 glc
	s_waitcnt vmcnt(0)
	v_cmp_eq_u64_e32 vcc, v[4:5], v[6:7]
	v_mov_b32_e32 v7, v5
	s_or_b64 s[16:17], vcc, s[16:17]
	v_mov_b32_e32 v6, v4
	s_andn2_b64 exec, exec, s[16:17]
	s_cbranch_execnz .LBB7_226
	s_branch .LBB7_144
.LBB7_227:
                                        ; implicit-def: $vgpr2_vgpr3
	s_cbranch_execnz .LBB7_229
	s_branch .LBB7_255
.LBB7_228:
	s_branch .LBB7_255
.LBB7_229:
	v_readfirstlane_b32 s4, v30
	v_mov_b32_e32 v8, 0
	v_mov_b32_e32 v9, 0
	v_cmp_eq_u32_e64 s[4:5], s4, v30
	s_and_saveexec_b64 s[10:11], s[4:5]
	s_cbranch_execz .LBB7_235
; %bb.230:
	s_waitcnt vmcnt(0)
	v_mov_b32_e32 v2, 0
	global_load_dwordx2 v[5:6], v2, s[6:7] offset:24 glc
	s_waitcnt vmcnt(0)
	buffer_wbinvl1_vol
	global_load_dwordx2 v[3:4], v2, s[6:7] offset:40
	global_load_dwordx2 v[7:8], v2, s[6:7]
	s_waitcnt vmcnt(1)
	v_and_b32_e32 v3, v3, v5
	v_and_b32_e32 v4, v4, v6
	v_mul_lo_u32 v4, v4, 24
	v_mul_hi_u32 v9, v3, 24
	v_mul_lo_u32 v3, v3, 24
	v_add_u32_e32 v4, v9, v4
	s_waitcnt vmcnt(0)
	v_add_co_u32_e32 v3, vcc, v7, v3
	v_addc_co_u32_e32 v4, vcc, v8, v4, vcc
	global_load_dwordx2 v[3:4], v[3:4], off glc
	s_waitcnt vmcnt(0)
	global_atomic_cmpswap_x2 v[8:9], v2, v[3:6], s[6:7] offset:24 glc
	s_waitcnt vmcnt(0)
	buffer_wbinvl1_vol
	v_cmp_ne_u64_e32 vcc, v[8:9], v[5:6]
	s_and_saveexec_b64 s[12:13], vcc
	s_cbranch_execz .LBB7_234
; %bb.231:
	s_mov_b64 s[14:15], 0
.LBB7_232:                              ; =>This Inner Loop Header: Depth=1
	s_sleep 1
	global_load_dwordx2 v[3:4], v2, s[6:7] offset:40
	global_load_dwordx2 v[10:11], v2, s[6:7]
	v_mov_b32_e32 v5, v8
	v_mov_b32_e32 v6, v9
	s_waitcnt vmcnt(1)
	v_and_b32_e32 v3, v3, v5
	s_waitcnt vmcnt(0)
	v_mad_u64_u32 v[7:8], s[16:17], v3, 24, v[10:11]
	v_and_b32_e32 v4, v4, v6
	v_mov_b32_e32 v3, v8
	v_mad_u64_u32 v[3:4], s[16:17], v4, 24, v[3:4]
	v_mov_b32_e32 v8, v3
	global_load_dwordx2 v[3:4], v[7:8], off glc
	s_waitcnt vmcnt(0)
	global_atomic_cmpswap_x2 v[8:9], v2, v[3:6], s[6:7] offset:24 glc
	s_waitcnt vmcnt(0)
	buffer_wbinvl1_vol
	v_cmp_eq_u64_e32 vcc, v[8:9], v[5:6]
	s_or_b64 s[14:15], vcc, s[14:15]
	s_andn2_b64 exec, exec, s[14:15]
	s_cbranch_execnz .LBB7_232
; %bb.233:
	s_or_b64 exec, exec, s[14:15]
.LBB7_234:
	s_or_b64 exec, exec, s[12:13]
.LBB7_235:
	s_or_b64 exec, exec, s[10:11]
	s_waitcnt vmcnt(0)
	v_mov_b32_e32 v2, 0
	global_load_dwordx2 v[10:11], v2, s[6:7] offset:40
	global_load_dwordx4 v[4:7], v2, s[6:7]
	v_readfirstlane_b32 s11, v9
	v_readfirstlane_b32 s10, v8
	s_mov_b64 s[12:13], exec
	s_waitcnt vmcnt(1)
	v_readfirstlane_b32 s14, v10
	v_readfirstlane_b32 s15, v11
	s_and_b64 s[14:15], s[14:15], s[10:11]
	s_mul_i32 s16, s15, 24
	s_mul_hi_u32 s17, s14, 24
	s_mul_i32 s18, s14, 24
	s_add_i32 s16, s17, s16
	v_mov_b32_e32 v3, s16
	s_waitcnt vmcnt(0)
	v_add_co_u32_e32 v8, vcc, s18, v4
	v_addc_co_u32_e32 v9, vcc, v5, v3, vcc
	s_and_saveexec_b64 s[16:17], s[4:5]
	s_cbranch_execz .LBB7_237
; %bb.236:
	v_mov_b32_e32 v10, s12
	v_mov_b32_e32 v11, s13
	;; [unrolled: 1-line block ×4, first 2 shown]
	global_store_dwordx4 v[8:9], v[10:13], off offset:8
.LBB7_237:
	s_or_b64 exec, exec, s[16:17]
	s_lshl_b64 s[12:13], s[14:15], 12
	v_mov_b32_e32 v3, s13
	v_add_co_u32_e32 v10, vcc, s12, v6
	v_addc_co_u32_e32 v11, vcc, v7, v3, vcc
	s_movk_i32 s12, 0xff1f
	v_and_or_b32 v0, v0, s12, 32
	s_mov_b32 s12, 0
	v_mov_b32_e32 v3, v2
	v_readfirstlane_b32 s16, v10
	v_readfirstlane_b32 s17, v11
	v_add_co_u32_e32 v6, vcc, v10, v29
	s_mov_b32 s13, s12
	s_mov_b32 s14, s12
	;; [unrolled: 1-line block ×3, first 2 shown]
	s_nop 0
	global_store_dwordx4 v29, v[0:3], s[16:17]
	v_addc_co_u32_e32 v7, vcc, 0, v11, vcc
	v_mov_b32_e32 v0, s12
	v_mov_b32_e32 v1, s13
	;; [unrolled: 1-line block ×4, first 2 shown]
	global_store_dwordx4 v29, v[0:3], s[16:17] offset:16
	global_store_dwordx4 v29, v[0:3], s[16:17] offset:32
	;; [unrolled: 1-line block ×3, first 2 shown]
	s_and_saveexec_b64 s[12:13], s[4:5]
	s_cbranch_execz .LBB7_245
; %bb.238:
	v_mov_b32_e32 v10, 0
	global_load_dwordx2 v[13:14], v10, s[6:7] offset:32 glc
	global_load_dwordx2 v[0:1], v10, s[6:7] offset:40
	v_mov_b32_e32 v11, s10
	v_mov_b32_e32 v12, s11
	s_waitcnt vmcnt(0)
	v_readfirstlane_b32 s14, v0
	v_readfirstlane_b32 s15, v1
	s_and_b64 s[14:15], s[14:15], s[10:11]
	s_mul_i32 s15, s15, 24
	s_mul_hi_u32 s16, s14, 24
	s_mul_i32 s14, s14, 24
	s_add_i32 s15, s16, s15
	v_mov_b32_e32 v0, s15
	v_add_co_u32_e32 v4, vcc, s14, v4
	v_addc_co_u32_e32 v5, vcc, v5, v0, vcc
	global_store_dwordx2 v[4:5], v[13:14], off
	s_waitcnt vmcnt(0)
	global_atomic_cmpswap_x2 v[2:3], v10, v[11:14], s[6:7] offset:32 glc
	s_waitcnt vmcnt(0)
	v_cmp_ne_u64_e32 vcc, v[2:3], v[13:14]
	s_and_saveexec_b64 s[14:15], vcc
	s_cbranch_execz .LBB7_241
; %bb.239:
	s_mov_b64 s[16:17], 0
.LBB7_240:                              ; =>This Inner Loop Header: Depth=1
	s_sleep 1
	global_store_dwordx2 v[4:5], v[2:3], off
	v_mov_b32_e32 v0, s10
	v_mov_b32_e32 v1, s11
	s_waitcnt vmcnt(0)
	global_atomic_cmpswap_x2 v[0:1], v10, v[0:3], s[6:7] offset:32 glc
	s_waitcnt vmcnt(0)
	v_cmp_eq_u64_e32 vcc, v[0:1], v[2:3]
	v_mov_b32_e32 v3, v1
	s_or_b64 s[16:17], vcc, s[16:17]
	v_mov_b32_e32 v2, v0
	s_andn2_b64 exec, exec, s[16:17]
	s_cbranch_execnz .LBB7_240
.LBB7_241:
	s_or_b64 exec, exec, s[14:15]
	v_mov_b32_e32 v3, 0
	global_load_dwordx2 v[0:1], v3, s[6:7] offset:16
	s_mov_b64 s[14:15], exec
	v_mbcnt_lo_u32_b32 v2, s14, 0
	v_mbcnt_hi_u32_b32 v2, s15, v2
	v_cmp_eq_u32_e32 vcc, 0, v2
	s_and_saveexec_b64 s[16:17], vcc
	s_cbranch_execz .LBB7_243
; %bb.242:
	s_bcnt1_i32_b64 s14, s[14:15]
	v_mov_b32_e32 v2, s14
	s_waitcnt vmcnt(0)
	global_atomic_add_x2 v[0:1], v[2:3], off offset:8
.LBB7_243:
	s_or_b64 exec, exec, s[16:17]
	s_waitcnt vmcnt(0)
	global_load_dwordx2 v[2:3], v[0:1], off offset:16
	s_waitcnt vmcnt(0)
	v_cmp_eq_u64_e32 vcc, 0, v[2:3]
	s_cbranch_vccnz .LBB7_245
; %bb.244:
	global_load_dword v0, v[0:1], off offset:24
	v_mov_b32_e32 v1, 0
	s_waitcnt vmcnt(0)
	v_readfirstlane_b32 s14, v0
	s_and_b32 m0, s14, 0xffffff
	global_store_dwordx2 v[2:3], v[0:1], off
	s_sendmsg sendmsg(MSG_INTERRUPT)
.LBB7_245:
	s_or_b64 exec, exec, s[12:13]
	s_branch .LBB7_249
.LBB7_246:                              ;   in Loop: Header=BB7_249 Depth=1
	s_or_b64 exec, exec, s[12:13]
	v_readfirstlane_b32 s12, v0
	s_cmp_eq_u32 s12, 0
	s_cbranch_scc1 .LBB7_248
; %bb.247:                              ;   in Loop: Header=BB7_249 Depth=1
	s_sleep 1
	s_cbranch_execnz .LBB7_249
	s_branch .LBB7_251
.LBB7_248:
	s_branch .LBB7_251
.LBB7_249:                              ; =>This Inner Loop Header: Depth=1
	v_mov_b32_e32 v0, 1
	s_and_saveexec_b64 s[12:13], s[4:5]
	s_cbranch_execz .LBB7_246
; %bb.250:                              ;   in Loop: Header=BB7_249 Depth=1
	global_load_dword v0, v[8:9], off offset:20 glc
	s_waitcnt vmcnt(0)
	buffer_wbinvl1_vol
	v_and_b32_e32 v0, 1, v0
	s_branch .LBB7_246
.LBB7_251:
	global_load_dwordx2 v[2:3], v[6:7], off
	s_and_saveexec_b64 s[12:13], s[4:5]
	s_cbranch_execz .LBB7_254
; %bb.252:
	v_mov_b32_e32 v8, 0
	global_load_dwordx2 v[0:1], v8, s[6:7] offset:40
	global_load_dwordx2 v[11:12], v8, s[6:7] offset:24 glc
	global_load_dwordx2 v[4:5], v8, s[6:7]
	s_waitcnt vmcnt(2)
	v_readfirstlane_b32 s14, v0
	v_readfirstlane_b32 s15, v1
	s_add_u32 s16, s14, 1
	s_addc_u32 s17, s15, 0
	s_add_u32 s4, s16, s10
	s_addc_u32 s5, s17, s11
	s_cmp_eq_u64 s[4:5], 0
	s_cselect_b32 s5, s17, s5
	s_cselect_b32 s4, s16, s4
	s_and_b64 s[10:11], s[4:5], s[14:15]
	s_mul_i32 s11, s11, 24
	s_mul_hi_u32 s14, s10, 24
	s_mul_i32 s10, s10, 24
	s_add_i32 s11, s14, s11
	v_mov_b32_e32 v1, s11
	s_waitcnt vmcnt(0)
	v_add_co_u32_e32 v0, vcc, s10, v4
	v_addc_co_u32_e32 v1, vcc, v5, v1, vcc
	v_mov_b32_e32 v9, s4
	global_store_dwordx2 v[0:1], v[11:12], off
	v_mov_b32_e32 v10, s5
	s_waitcnt vmcnt(0)
	global_atomic_cmpswap_x2 v[6:7], v8, v[9:12], s[6:7] offset:24 glc
	s_mov_b64 s[10:11], 0
	s_waitcnt vmcnt(0)
	v_cmp_ne_u64_e32 vcc, v[6:7], v[11:12]
	s_and_b64 exec, exec, vcc
	s_cbranch_execz .LBB7_254
.LBB7_253:                              ; =>This Inner Loop Header: Depth=1
	s_sleep 1
	global_store_dwordx2 v[0:1], v[6:7], off
	v_mov_b32_e32 v4, s4
	v_mov_b32_e32 v5, s5
	s_waitcnt vmcnt(0)
	global_atomic_cmpswap_x2 v[4:5], v8, v[4:7], s[6:7] offset:24 glc
	s_waitcnt vmcnt(0)
	v_cmp_eq_u64_e32 vcc, v[4:5], v[6:7]
	v_mov_b32_e32 v7, v5
	s_or_b64 s[10:11], vcc, s[10:11]
	v_mov_b32_e32 v6, v4
	s_andn2_b64 exec, exec, s[10:11]
	s_cbranch_execnz .LBB7_253
.LBB7_254:
	s_or_b64 exec, exec, s[12:13]
.LBB7_255:
	v_readfirstlane_b32 s4, v30
	s_waitcnt vmcnt(0)
	v_mov_b32_e32 v0, 0
	v_mov_b32_e32 v1, 0
	v_cmp_eq_u32_e64 s[4:5], s4, v30
	s_and_saveexec_b64 s[10:11], s[4:5]
	s_cbranch_execz .LBB7_261
; %bb.256:
	v_mov_b32_e32 v4, 0
	global_load_dwordx2 v[7:8], v4, s[6:7] offset:24 glc
	s_waitcnt vmcnt(0)
	buffer_wbinvl1_vol
	global_load_dwordx2 v[0:1], v4, s[6:7] offset:40
	global_load_dwordx2 v[5:6], v4, s[6:7]
	s_waitcnt vmcnt(1)
	v_and_b32_e32 v0, v0, v7
	v_and_b32_e32 v1, v1, v8
	v_mul_lo_u32 v1, v1, 24
	v_mul_hi_u32 v9, v0, 24
	v_mul_lo_u32 v0, v0, 24
	v_add_u32_e32 v1, v9, v1
	s_waitcnt vmcnt(0)
	v_add_co_u32_e32 v0, vcc, v5, v0
	v_addc_co_u32_e32 v1, vcc, v6, v1, vcc
	global_load_dwordx2 v[5:6], v[0:1], off glc
	s_waitcnt vmcnt(0)
	global_atomic_cmpswap_x2 v[0:1], v4, v[5:8], s[6:7] offset:24 glc
	s_waitcnt vmcnt(0)
	buffer_wbinvl1_vol
	v_cmp_ne_u64_e32 vcc, v[0:1], v[7:8]
	s_and_saveexec_b64 s[12:13], vcc
	s_cbranch_execz .LBB7_260
; %bb.257:
	s_mov_b64 s[14:15], 0
.LBB7_258:                              ; =>This Inner Loop Header: Depth=1
	s_sleep 1
	global_load_dwordx2 v[5:6], v4, s[6:7] offset:40
	global_load_dwordx2 v[9:10], v4, s[6:7]
	v_mov_b32_e32 v8, v1
	v_mov_b32_e32 v7, v0
	s_waitcnt vmcnt(1)
	v_and_b32_e32 v0, v5, v7
	s_waitcnt vmcnt(0)
	v_mad_u64_u32 v[0:1], s[16:17], v0, 24, v[9:10]
	v_and_b32_e32 v5, v6, v8
	v_mad_u64_u32 v[5:6], s[16:17], v5, 24, v[1:2]
	v_mov_b32_e32 v1, v5
	global_load_dwordx2 v[5:6], v[0:1], off glc
	s_waitcnt vmcnt(0)
	global_atomic_cmpswap_x2 v[0:1], v4, v[5:8], s[6:7] offset:24 glc
	s_waitcnt vmcnt(0)
	buffer_wbinvl1_vol
	v_cmp_eq_u64_e32 vcc, v[0:1], v[7:8]
	s_or_b64 s[14:15], vcc, s[14:15]
	s_andn2_b64 exec, exec, s[14:15]
	s_cbranch_execnz .LBB7_258
; %bb.259:
	s_or_b64 exec, exec, s[14:15]
.LBB7_260:
	s_or_b64 exec, exec, s[12:13]
.LBB7_261:
	s_or_b64 exec, exec, s[10:11]
	v_mov_b32_e32 v5, 0
	global_load_dwordx2 v[10:11], v5, s[6:7] offset:40
	global_load_dwordx4 v[6:9], v5, s[6:7]
	v_readfirstlane_b32 s11, v1
	v_readfirstlane_b32 s10, v0
	s_mov_b64 s[12:13], exec
	s_waitcnt vmcnt(1)
	v_readfirstlane_b32 s14, v10
	v_readfirstlane_b32 s15, v11
	s_and_b64 s[14:15], s[14:15], s[10:11]
	s_mul_i32 s16, s15, 24
	s_mul_hi_u32 s17, s14, 24
	s_mul_i32 s18, s14, 24
	s_add_i32 s16, s17, s16
	v_mov_b32_e32 v0, s16
	s_waitcnt vmcnt(0)
	v_add_co_u32_e32 v10, vcc, s18, v6
	v_addc_co_u32_e32 v11, vcc, v7, v0, vcc
	s_and_saveexec_b64 s[16:17], s[4:5]
	s_cbranch_execz .LBB7_263
; %bb.262:
	v_mov_b32_e32 v12, s12
	v_mov_b32_e32 v13, s13
	;; [unrolled: 1-line block ×4, first 2 shown]
	global_store_dwordx4 v[10:11], v[12:15], off offset:8
.LBB7_263:
	s_or_b64 exec, exec, s[16:17]
	s_lshl_b64 s[12:13], s[14:15], 12
	v_mov_b32_e32 v0, s13
	v_add_co_u32_e32 v1, vcc, s12, v8
	v_addc_co_u32_e32 v0, vcc, v9, v0, vcc
	s_movk_i32 s12, 0xff1f
	v_and_or_b32 v2, v2, s12, 32
	v_add_co_u32_e32 v8, vcc, v1, v29
	s_mov_b32 s12, 0
	v_mov_b32_e32 v4, 0x41
	v_readfirstlane_b32 s16, v1
	v_readfirstlane_b32 s17, v0
	v_addc_co_u32_e32 v9, vcc, 0, v0, vcc
	s_mov_b32 s13, s12
	s_mov_b32 s14, s12
	;; [unrolled: 1-line block ×3, first 2 shown]
	s_nop 0
	global_store_dwordx4 v29, v[2:5], s[16:17]
	v_mov_b32_e32 v0, s12
	v_mov_b32_e32 v1, s13
	;; [unrolled: 1-line block ×4, first 2 shown]
	global_store_dwordx4 v29, v[0:3], s[16:17] offset:16
	global_store_dwordx4 v29, v[0:3], s[16:17] offset:32
	global_store_dwordx4 v29, v[0:3], s[16:17] offset:48
	s_and_saveexec_b64 s[12:13], s[4:5]
	s_cbranch_execz .LBB7_271
; %bb.264:
	v_mov_b32_e32 v12, 0
	global_load_dwordx2 v[15:16], v12, s[6:7] offset:32 glc
	global_load_dwordx2 v[0:1], v12, s[6:7] offset:40
	v_mov_b32_e32 v13, s10
	v_mov_b32_e32 v14, s11
	s_waitcnt vmcnt(0)
	v_readfirstlane_b32 s14, v0
	v_readfirstlane_b32 s15, v1
	s_and_b64 s[14:15], s[14:15], s[10:11]
	s_mul_i32 s15, s15, 24
	s_mul_hi_u32 s16, s14, 24
	s_mul_i32 s14, s14, 24
	s_add_i32 s15, s16, s15
	v_mov_b32_e32 v0, s15
	v_add_co_u32_e32 v4, vcc, s14, v6
	v_addc_co_u32_e32 v5, vcc, v7, v0, vcc
	global_store_dwordx2 v[4:5], v[15:16], off
	s_waitcnt vmcnt(0)
	global_atomic_cmpswap_x2 v[2:3], v12, v[13:16], s[6:7] offset:32 glc
	s_waitcnt vmcnt(0)
	v_cmp_ne_u64_e32 vcc, v[2:3], v[15:16]
	s_and_saveexec_b64 s[14:15], vcc
	s_cbranch_execz .LBB7_267
; %bb.265:
	s_mov_b64 s[16:17], 0
.LBB7_266:                              ; =>This Inner Loop Header: Depth=1
	s_sleep 1
	global_store_dwordx2 v[4:5], v[2:3], off
	v_mov_b32_e32 v0, s10
	v_mov_b32_e32 v1, s11
	s_waitcnt vmcnt(0)
	global_atomic_cmpswap_x2 v[0:1], v12, v[0:3], s[6:7] offset:32 glc
	s_waitcnt vmcnt(0)
	v_cmp_eq_u64_e32 vcc, v[0:1], v[2:3]
	v_mov_b32_e32 v3, v1
	s_or_b64 s[16:17], vcc, s[16:17]
	v_mov_b32_e32 v2, v0
	s_andn2_b64 exec, exec, s[16:17]
	s_cbranch_execnz .LBB7_266
.LBB7_267:
	s_or_b64 exec, exec, s[14:15]
	v_mov_b32_e32 v3, 0
	global_load_dwordx2 v[0:1], v3, s[6:7] offset:16
	s_mov_b64 s[14:15], exec
	v_mbcnt_lo_u32_b32 v2, s14, 0
	v_mbcnt_hi_u32_b32 v2, s15, v2
	v_cmp_eq_u32_e32 vcc, 0, v2
	s_and_saveexec_b64 s[16:17], vcc
	s_cbranch_execz .LBB7_269
; %bb.268:
	s_bcnt1_i32_b64 s14, s[14:15]
	v_mov_b32_e32 v2, s14
	s_waitcnt vmcnt(0)
	global_atomic_add_x2 v[0:1], v[2:3], off offset:8
.LBB7_269:
	s_or_b64 exec, exec, s[16:17]
	s_waitcnt vmcnt(0)
	global_load_dwordx2 v[2:3], v[0:1], off offset:16
	s_waitcnt vmcnt(0)
	v_cmp_eq_u64_e32 vcc, 0, v[2:3]
	s_cbranch_vccnz .LBB7_271
; %bb.270:
	global_load_dword v0, v[0:1], off offset:24
	v_mov_b32_e32 v1, 0
	s_waitcnt vmcnt(0)
	v_readfirstlane_b32 s14, v0
	s_and_b32 m0, s14, 0xffffff
	global_store_dwordx2 v[2:3], v[0:1], off
	s_sendmsg sendmsg(MSG_INTERRUPT)
.LBB7_271:
	s_or_b64 exec, exec, s[12:13]
	s_branch .LBB7_275
.LBB7_272:                              ;   in Loop: Header=BB7_275 Depth=1
	s_or_b64 exec, exec, s[12:13]
	v_readfirstlane_b32 s12, v0
	s_cmp_eq_u32 s12, 0
	s_cbranch_scc1 .LBB7_274
; %bb.273:                              ;   in Loop: Header=BB7_275 Depth=1
	s_sleep 1
	s_cbranch_execnz .LBB7_275
	s_branch .LBB7_277
.LBB7_274:
	s_branch .LBB7_277
.LBB7_275:                              ; =>This Inner Loop Header: Depth=1
	v_mov_b32_e32 v0, 1
	s_and_saveexec_b64 s[12:13], s[4:5]
	s_cbranch_execz .LBB7_272
; %bb.276:                              ;   in Loop: Header=BB7_275 Depth=1
	global_load_dword v0, v[10:11], off offset:20 glc
	s_waitcnt vmcnt(0)
	buffer_wbinvl1_vol
	v_and_b32_e32 v0, 1, v0
	s_branch .LBB7_272
.LBB7_277:
	global_load_dwordx2 v[0:1], v[8:9], off
	s_and_saveexec_b64 s[12:13], s[4:5]
	s_cbranch_execz .LBB7_280
; %bb.278:
	v_mov_b32_e32 v8, 0
	global_load_dwordx2 v[2:3], v8, s[6:7] offset:40
	global_load_dwordx2 v[11:12], v8, s[6:7] offset:24 glc
	global_load_dwordx2 v[4:5], v8, s[6:7]
	s_waitcnt vmcnt(2)
	v_readfirstlane_b32 s14, v2
	v_readfirstlane_b32 s15, v3
	s_add_u32 s16, s14, 1
	s_addc_u32 s17, s15, 0
	s_add_u32 s4, s16, s10
	s_addc_u32 s5, s17, s11
	s_cmp_eq_u64 s[4:5], 0
	s_cselect_b32 s5, s17, s5
	s_cselect_b32 s4, s16, s4
	s_and_b64 s[10:11], s[4:5], s[14:15]
	s_mul_i32 s11, s11, 24
	s_mul_hi_u32 s14, s10, 24
	s_mul_i32 s10, s10, 24
	s_add_i32 s11, s14, s11
	v_mov_b32_e32 v2, s11
	s_waitcnt vmcnt(0)
	v_add_co_u32_e32 v6, vcc, s10, v4
	v_addc_co_u32_e32 v7, vcc, v5, v2, vcc
	v_mov_b32_e32 v9, s4
	global_store_dwordx2 v[6:7], v[11:12], off
	v_mov_b32_e32 v10, s5
	s_waitcnt vmcnt(0)
	global_atomic_cmpswap_x2 v[4:5], v8, v[9:12], s[6:7] offset:24 glc
	s_mov_b64 s[10:11], 0
	s_waitcnt vmcnt(0)
	v_cmp_ne_u64_e32 vcc, v[4:5], v[11:12]
	s_and_b64 exec, exec, vcc
	s_cbranch_execz .LBB7_280
.LBB7_279:                              ; =>This Inner Loop Header: Depth=1
	s_sleep 1
	global_store_dwordx2 v[6:7], v[4:5], off
	v_mov_b32_e32 v2, s4
	v_mov_b32_e32 v3, s5
	s_waitcnt vmcnt(0)
	global_atomic_cmpswap_x2 v[2:3], v8, v[2:5], s[6:7] offset:24 glc
	s_waitcnt vmcnt(0)
	v_cmp_eq_u64_e32 vcc, v[2:3], v[4:5]
	v_mov_b32_e32 v5, v3
	s_or_b64 s[10:11], vcc, s[10:11]
	v_mov_b32_e32 v4, v2
	s_andn2_b64 exec, exec, s[10:11]
	s_cbranch_execnz .LBB7_279
.LBB7_280:
	s_or_b64 exec, exec, s[12:13]
	s_getpc_b64 s[4:5]
	s_add_u32 s4, s4, __FUNCTION__._ZL18flash_attn_ext_vecILi64ELi1EL9ggml_type2ELS0_8ELb1EEvPKcS2_S2_S2_S2_PKiPfP15HIP_vector_typeIfLj2EEffffjfiS6_IjLj3EEiiiiiiiiiiiliiliiiiil@rel32@lo+4
	s_addc_u32 s5, s5, __FUNCTION__._ZL18flash_attn_ext_vecILi64ELi1EL9ggml_type2ELS0_8ELb1EEvPKcS2_S2_S2_S2_PKiPfP15HIP_vector_typeIfLj2EEffffjfiS6_IjLj3EEiiiiiiiiiiiliiliiiiil@rel32@hi+12
	s_cmp_lg_u64 s[4:5], 0
	s_cselect_b32 s10, 19, 0
	s_getpc_b64 s[6:7]
	s_add_u32 s6, s6, __ockl_printf_append_string_n@rel32@lo+4
	s_addc_u32 s7, s7, __ockl_printf_append_string_n@rel32@hi+12
	v_mov_b32_e32 v2, s4
	v_mov_b32_e32 v3, s5
	;; [unrolled: 1-line block ×4, first 2 shown]
	s_mov_b64 s[24:25], s[8:9]
	s_swappc_b64 s[30:31], s[6:7]
	s_getpc_b64 s[4:5]
	s_add_u32 s4, s4, __ockl_printf_append_args@rel32@lo+4
	s_addc_u32 s5, s5, __ockl_printf_append_args@rel32@hi+12
	s_mov_b64 s[8:9], s[24:25]
	v_mov_b32_e32 v2, 0x514
	v_mov_b32_e32 v3, 0
	;; [unrolled: 1-line block ×3, first 2 shown]
	s_swappc_b64 s[30:31], s[4:5]
	s_trap 2
.Lfunc_end7:
	.size	_ZL14no_device_codePKciS0_iS0_, .Lfunc_end7-_ZL14no_device_codePKciS0_iS0_
                                        ; -- End function
	.set .L_ZL14no_device_codePKciS0_iS0_.num_vgpr, max(41, .L__ockl_printf_append_string_n.num_vgpr, .L__ockl_printf_append_args.num_vgpr)
	.set .L_ZL14no_device_codePKciS0_iS0_.num_agpr, max(0, .L__ockl_printf_append_string_n.num_agpr, .L__ockl_printf_append_args.num_agpr)
	.set .L_ZL14no_device_codePKciS0_iS0_.numbered_sgpr, max(34, .L__ockl_printf_append_string_n.numbered_sgpr, .L__ockl_printf_append_args.numbered_sgpr)
	.set .L_ZL14no_device_codePKciS0_iS0_.num_named_barrier, max(0, .L__ockl_printf_append_string_n.num_named_barrier, .L__ockl_printf_append_args.num_named_barrier)
	.set .L_ZL14no_device_codePKciS0_iS0_.private_seg_size, 16+max(.L__ockl_printf_append_string_n.private_seg_size, .L__ockl_printf_append_args.private_seg_size)
	.set .L_ZL14no_device_codePKciS0_iS0_.uses_vcc, or(1, .L__ockl_printf_append_string_n.uses_vcc, .L__ockl_printf_append_args.uses_vcc)
	.set .L_ZL14no_device_codePKciS0_iS0_.uses_flat_scratch, or(0, .L__ockl_printf_append_string_n.uses_flat_scratch, .L__ockl_printf_append_args.uses_flat_scratch)
	.set .L_ZL14no_device_codePKciS0_iS0_.has_dyn_sized_stack, or(0, .L__ockl_printf_append_string_n.has_dyn_sized_stack, .L__ockl_printf_append_args.has_dyn_sized_stack)
	.set .L_ZL14no_device_codePKciS0_iS0_.has_recursion, or(0, .L__ockl_printf_append_string_n.has_recursion, .L__ockl_printf_append_args.has_recursion)
	.set .L_ZL14no_device_codePKciS0_iS0_.has_indirect_call, or(0, .L__ockl_printf_append_string_n.has_indirect_call, .L__ockl_printf_append_args.has_indirect_call)
	.section	.AMDGPU.csdata,"",@progbits
; Function info:
; codeLenInByte = 9536
; TotalNumSgprs: 38
; NumVgprs: 41
; ScratchSize: 16
; MemoryBound: 0
	.section	.text._ZL18flash_attn_ext_vecILi64ELi1EL9ggml_type2ELS0_8ELb1EEvPKcS2_S2_S2_S2_PKiPfP15HIP_vector_typeIfLj2EEffffjfiS6_IjLj3EEiiiiiiiiiiiliiliiiiil,"axG",@progbits,_ZL18flash_attn_ext_vecILi64ELi1EL9ggml_type2ELS0_8ELb1EEvPKcS2_S2_S2_S2_PKiPfP15HIP_vector_typeIfLj2EEffffjfiS6_IjLj3EEiiiiiiiiiiiliiliiiiil,comdat
	.globl	_ZL18flash_attn_ext_vecILi64ELi1EL9ggml_type2ELS0_8ELb1EEvPKcS2_S2_S2_S2_PKiPfP15HIP_vector_typeIfLj2EEffffjfiS6_IjLj3EEiiiiiiiiiiiliiliiiiil ; -- Begin function _ZL18flash_attn_ext_vecILi64ELi1EL9ggml_type2ELS0_8ELb1EEvPKcS2_S2_S2_S2_PKiPfP15HIP_vector_typeIfLj2EEffffjfiS6_IjLj3EEiiiiiiiiiiiliiliiiiil
	.p2align	8
	.type	_ZL18flash_attn_ext_vecILi64ELi1EL9ggml_type2ELS0_8ELb1EEvPKcS2_S2_S2_S2_PKiPfP15HIP_vector_typeIfLj2EEffffjfiS6_IjLj3EEiiiiiiiiiiiliiliiiiil,@function
_ZL18flash_attn_ext_vecILi64ELi1EL9ggml_type2ELS0_8ELb1EEvPKcS2_S2_S2_S2_PKiPfP15HIP_vector_typeIfLj2EEffffjfiS6_IjLj3EEiiiiiiiiiiiliiliiiiil: ; @_ZL18flash_attn_ext_vecILi64ELi1EL9ggml_type2ELS0_8ELb1EEvPKcS2_S2_S2_S2_PKiPfP15HIP_vector_typeIfLj2EEffffjfiS6_IjLj3EEiiiiiiiiiiiliiliiiiil
; %bb.0:
	s_add_u32 s0, s0, s7
	s_addc_u32 s1, s1, 0
	s_add_u32 s8, s4, 0xd0
	s_addc_u32 s9, s5, 0
	s_getpc_b64 s[4:5]
	s_add_u32 s4, s4, _ZL14no_device_codePKciS0_iS0_@rel32@lo+4
	s_addc_u32 s5, s5, _ZL14no_device_codePKciS0_iS0_@rel32@hi+12
	s_mov_b32 s32, 0
	s_swappc_b64 s[30:31], s[4:5]
	.section	.rodata,"a",@progbits
	.p2align	6, 0x0
	.amdhsa_kernel _ZL18flash_attn_ext_vecILi64ELi1EL9ggml_type2ELS0_8ELb1EEvPKcS2_S2_S2_S2_PKiPfP15HIP_vector_typeIfLj2EEffffjfiS6_IjLj3EEiiiiiiiiiiiliiliiiiil
		.amdhsa_group_segment_fixed_size 0
		.amdhsa_private_segment_fixed_size 16
		.amdhsa_kernarg_size 464
		.amdhsa_user_sgpr_count 6
		.amdhsa_user_sgpr_private_segment_buffer 1
		.amdhsa_user_sgpr_dispatch_ptr 0
		.amdhsa_user_sgpr_queue_ptr 0
		.amdhsa_user_sgpr_kernarg_segment_ptr 1
		.amdhsa_user_sgpr_dispatch_id 0
		.amdhsa_user_sgpr_flat_scratch_init 0
		.amdhsa_user_sgpr_private_segment_size 0
		.amdhsa_uses_dynamic_stack 0
		.amdhsa_system_sgpr_private_segment_wavefront_offset 1
		.amdhsa_system_sgpr_workgroup_id_x 1
		.amdhsa_system_sgpr_workgroup_id_y 0
		.amdhsa_system_sgpr_workgroup_id_z 0
		.amdhsa_system_sgpr_workgroup_info 0
		.amdhsa_system_vgpr_workitem_id 0
		.amdhsa_next_free_vgpr 41
		.amdhsa_next_free_sgpr 34
		.amdhsa_reserve_vcc 1
		.amdhsa_reserve_flat_scratch 0
		.amdhsa_float_round_mode_32 0
		.amdhsa_float_round_mode_16_64 0
		.amdhsa_float_denorm_mode_32 3
		.amdhsa_float_denorm_mode_16_64 3
		.amdhsa_dx10_clamp 1
		.amdhsa_ieee_mode 1
		.amdhsa_fp16_overflow 0
		.amdhsa_exception_fp_ieee_invalid_op 0
		.amdhsa_exception_fp_denorm_src 0
		.amdhsa_exception_fp_ieee_div_zero 0
		.amdhsa_exception_fp_ieee_overflow 0
		.amdhsa_exception_fp_ieee_underflow 0
		.amdhsa_exception_fp_ieee_inexact 0
		.amdhsa_exception_int_div_zero 0
	.end_amdhsa_kernel
	.section	.text._ZL18flash_attn_ext_vecILi64ELi1EL9ggml_type2ELS0_8ELb1EEvPKcS2_S2_S2_S2_PKiPfP15HIP_vector_typeIfLj2EEffffjfiS6_IjLj3EEiiiiiiiiiiiliiliiiiil,"axG",@progbits,_ZL18flash_attn_ext_vecILi64ELi1EL9ggml_type2ELS0_8ELb1EEvPKcS2_S2_S2_S2_PKiPfP15HIP_vector_typeIfLj2EEffffjfiS6_IjLj3EEiiiiiiiiiiiliiliiiiil,comdat
.Lfunc_end8:
	.size	_ZL18flash_attn_ext_vecILi64ELi1EL9ggml_type2ELS0_8ELb1EEvPKcS2_S2_S2_S2_PKiPfP15HIP_vector_typeIfLj2EEffffjfiS6_IjLj3EEiiiiiiiiiiiliiliiiiil, .Lfunc_end8-_ZL18flash_attn_ext_vecILi64ELi1EL9ggml_type2ELS0_8ELb1EEvPKcS2_S2_S2_S2_PKiPfP15HIP_vector_typeIfLj2EEffffjfiS6_IjLj3EEiiiiiiiiiiiliiliiiiil
                                        ; -- End function
	.set _ZL18flash_attn_ext_vecILi64ELi1EL9ggml_type2ELS0_8ELb1EEvPKcS2_S2_S2_S2_PKiPfP15HIP_vector_typeIfLj2EEffffjfiS6_IjLj3EEiiiiiiiiiiiliiliiiiil.num_vgpr, max(0, .L_ZL14no_device_codePKciS0_iS0_.num_vgpr)
	.set _ZL18flash_attn_ext_vecILi64ELi1EL9ggml_type2ELS0_8ELb1EEvPKcS2_S2_S2_S2_PKiPfP15HIP_vector_typeIfLj2EEffffjfiS6_IjLj3EEiiiiiiiiiiiliiliiiiil.num_agpr, max(0, .L_ZL14no_device_codePKciS0_iS0_.num_agpr)
	.set _ZL18flash_attn_ext_vecILi64ELi1EL9ggml_type2ELS0_8ELb1EEvPKcS2_S2_S2_S2_PKiPfP15HIP_vector_typeIfLj2EEffffjfiS6_IjLj3EEiiiiiiiiiiiliiliiiiil.numbered_sgpr, max(33, .L_ZL14no_device_codePKciS0_iS0_.numbered_sgpr)
	.set _ZL18flash_attn_ext_vecILi64ELi1EL9ggml_type2ELS0_8ELb1EEvPKcS2_S2_S2_S2_PKiPfP15HIP_vector_typeIfLj2EEffffjfiS6_IjLj3EEiiiiiiiiiiiliiliiiiil.num_named_barrier, max(0, .L_ZL14no_device_codePKciS0_iS0_.num_named_barrier)
	.set _ZL18flash_attn_ext_vecILi64ELi1EL9ggml_type2ELS0_8ELb1EEvPKcS2_S2_S2_S2_PKiPfP15HIP_vector_typeIfLj2EEffffjfiS6_IjLj3EEiiiiiiiiiiiliiliiiiil.private_seg_size, 0+max(.L_ZL14no_device_codePKciS0_iS0_.private_seg_size)
	.set _ZL18flash_attn_ext_vecILi64ELi1EL9ggml_type2ELS0_8ELb1EEvPKcS2_S2_S2_S2_PKiPfP15HIP_vector_typeIfLj2EEffffjfiS6_IjLj3EEiiiiiiiiiiiliiliiiiil.uses_vcc, or(1, .L_ZL14no_device_codePKciS0_iS0_.uses_vcc)
	.set _ZL18flash_attn_ext_vecILi64ELi1EL9ggml_type2ELS0_8ELb1EEvPKcS2_S2_S2_S2_PKiPfP15HIP_vector_typeIfLj2EEffffjfiS6_IjLj3EEiiiiiiiiiiiliiliiiiil.uses_flat_scratch, or(0, .L_ZL14no_device_codePKciS0_iS0_.uses_flat_scratch)
	.set _ZL18flash_attn_ext_vecILi64ELi1EL9ggml_type2ELS0_8ELb1EEvPKcS2_S2_S2_S2_PKiPfP15HIP_vector_typeIfLj2EEffffjfiS6_IjLj3EEiiiiiiiiiiiliiliiiiil.has_dyn_sized_stack, or(0, .L_ZL14no_device_codePKciS0_iS0_.has_dyn_sized_stack)
	.set _ZL18flash_attn_ext_vecILi64ELi1EL9ggml_type2ELS0_8ELb1EEvPKcS2_S2_S2_S2_PKiPfP15HIP_vector_typeIfLj2EEffffjfiS6_IjLj3EEiiiiiiiiiiiliiliiiiil.has_recursion, or(0, .L_ZL14no_device_codePKciS0_iS0_.has_recursion)
	.set _ZL18flash_attn_ext_vecILi64ELi1EL9ggml_type2ELS0_8ELb1EEvPKcS2_S2_S2_S2_PKiPfP15HIP_vector_typeIfLj2EEffffjfiS6_IjLj3EEiiiiiiiiiiiliiliiiiil.has_indirect_call, or(0, .L_ZL14no_device_codePKciS0_iS0_.has_indirect_call)
	.section	.AMDGPU.csdata,"",@progbits
; Kernel info:
; codeLenInByte = 48
; TotalNumSgprs: 38
; NumVgprs: 41
; ScratchSize: 16
; MemoryBound: 0
; FloatMode: 240
; IeeeMode: 1
; LDSByteSize: 0 bytes/workgroup (compile time only)
; SGPRBlocks: 4
; VGPRBlocks: 10
; NumSGPRsForWavesPerEU: 38
; NumVGPRsForWavesPerEU: 41
; Occupancy: 5
; WaveLimiterHint : 1
; COMPUTE_PGM_RSRC2:SCRATCH_EN: 1
; COMPUTE_PGM_RSRC2:USER_SGPR: 6
; COMPUTE_PGM_RSRC2:TRAP_HANDLER: 0
; COMPUTE_PGM_RSRC2:TGID_X_EN: 1
; COMPUTE_PGM_RSRC2:TGID_Y_EN: 0
; COMPUTE_PGM_RSRC2:TGID_Z_EN: 0
; COMPUTE_PGM_RSRC2:TIDIG_COMP_CNT: 0
	.section	.text._ZL18flash_attn_ext_vecILi64ELi2EL9ggml_type2ELS0_8ELb0EEvPKcS2_S2_S2_S2_PKiPfP15HIP_vector_typeIfLj2EEffffjfiS6_IjLj3EEiiiiiiiiiiiliiliiiiil,"axG",@progbits,_ZL18flash_attn_ext_vecILi64ELi2EL9ggml_type2ELS0_8ELb0EEvPKcS2_S2_S2_S2_PKiPfP15HIP_vector_typeIfLj2EEffffjfiS6_IjLj3EEiiiiiiiiiiiliiliiiiil,comdat
	.globl	_ZL18flash_attn_ext_vecILi64ELi2EL9ggml_type2ELS0_8ELb0EEvPKcS2_S2_S2_S2_PKiPfP15HIP_vector_typeIfLj2EEffffjfiS6_IjLj3EEiiiiiiiiiiiliiliiiiil ; -- Begin function _ZL18flash_attn_ext_vecILi64ELi2EL9ggml_type2ELS0_8ELb0EEvPKcS2_S2_S2_S2_PKiPfP15HIP_vector_typeIfLj2EEffffjfiS6_IjLj3EEiiiiiiiiiiiliiliiiiil
	.p2align	8
	.type	_ZL18flash_attn_ext_vecILi64ELi2EL9ggml_type2ELS0_8ELb0EEvPKcS2_S2_S2_S2_PKiPfP15HIP_vector_typeIfLj2EEffffjfiS6_IjLj3EEiiiiiiiiiiiliiliiiiil,@function
_ZL18flash_attn_ext_vecILi64ELi2EL9ggml_type2ELS0_8ELb0EEvPKcS2_S2_S2_S2_PKiPfP15HIP_vector_typeIfLj2EEffffjfiS6_IjLj3EEiiiiiiiiiiiliiliiiiil: ; @_ZL18flash_attn_ext_vecILi64ELi2EL9ggml_type2ELS0_8ELb0EEvPKcS2_S2_S2_S2_PKiPfP15HIP_vector_typeIfLj2EEffffjfiS6_IjLj3EEiiiiiiiiiiiliiliiiiil
; %bb.0:
	s_load_dwordx2 s[22:23], s[4:5], 0x64
	s_load_dwordx2 s[52:53], s[4:5], 0x80
	;; [unrolled: 1-line block ×3, first 2 shown]
	s_add_u32 s0, s0, s9
	s_addc_u32 s1, s1, 0
	s_waitcnt lgkmcnt(0)
	v_cvt_f32_u32_e32 v2, s23
	s_sub_i32 s9, 0, s23
	v_mov_b32_e32 v23, 1.0
	v_rcp_iflag_f32_e32 v2, v2
	v_mul_f32_e32 v2, 0x4f7ffffe, v2
	v_cvt_u32_f32_e32 v2, v2
	v_readfirstlane_b32 s10, v2
	s_mul_i32 s9, s9, s10
	s_mul_hi_u32 s9, s10, s9
	s_add_i32 s10, s10, s9
	s_mul_hi_u32 s9, s8, s10
	s_mul_i32 s10, s9, s23
	s_sub_i32 s10, s8, s10
	s_add_i32 s11, s9, 1
	s_sub_i32 s12, s10, s23
	s_cmp_ge_u32 s10, s23
	s_cselect_b32 s9, s11, s9
	s_cselect_b32 s10, s12, s10
	s_add_i32 s11, s9, 1
	s_cmp_ge_u32 s10, s23
	s_cselect_b32 s54, s11, s9
	s_abs_i32 s9, s53
	v_cvt_f32_u32_e32 v2, s9
	s_mul_i32 s12, s54, s23
	s_sub_i32 s13, 0, s9
	s_sub_i32 s24, s8, s12
	v_rcp_iflag_f32_e32 v2, v2
	s_abs_i32 s11, s23
	s_xor_b32 s10, s23, s53
	s_ashr_i32 s10, s10, 31
	v_mul_f32_e32 v2, 0x4f7ffffe, v2
	v_cvt_u32_f32_e32 v2, v2
	v_readfirstlane_b32 s8, v2
	s_mul_i32 s13, s13, s8
	s_mul_hi_u32 s12, s8, s13
	s_add_i32 s8, s8, s12
	s_mul_hi_u32 s8, s11, s8
	s_mul_i32 s12, s8, s9
	s_sub_i32 s11, s11, s12
	s_add_i32 s13, s8, 1
	s_sub_i32 s12, s11, s9
	s_cmp_ge_u32 s11, s9
	s_cselect_b32 s8, s13, s8
	s_cselect_b32 s11, s12, s11
	s_add_i32 s12, s8, 1
	s_cmp_ge_u32 s11, s9
	s_cselect_b32 s8, s12, s8
	s_xor_b32 s8, s8, s10
	s_sub_i32 s31, s8, s10
	s_abs_i32 s28, s28
	s_abs_i32 s30, s31
	v_cvt_f32_u32_e32 v2, s28
	v_cvt_f32_u32_e32 v3, s30
	s_load_dwordx4 s[12:15], s[4:5], 0x40
	s_load_dword s8, s[4:5], 0x50
	v_rcp_iflag_f32_e32 v2, v2
	v_rcp_iflag_f32_e32 v3, v3
	s_waitcnt lgkmcnt(0)
	v_cmp_le_f32_e64 s[10:11], s13, 0
	s_and_b64 vcc, exec, s[10:11]
	v_mul_f32_e32 v2, 0x4f7ffffe, v2
	v_mul_f32_e32 v3, 0x4f7ffffe, v3
	v_cvt_u32_f32_e32 v2, v2
	v_cvt_u32_f32_e32 v3, v3
	v_readfirstlane_b32 s18, v2
	v_readfirstlane_b32 s19, v3
	s_cbranch_vccnz .LBB9_2
; %bb.1:
	v_mov_b32_e32 v2, s8
	v_sub_co_u32_e32 v2, vcc, s24, v2
	v_mov_b32_e32 v3, s15
	v_mov_b32_e32 v4, s14
	s_add_i32 s8, s24, 1
	v_lshlrev_b32_e32 v2, 1, v2
	v_cndmask_b32_e32 v3, v3, v4, vcc
	v_or_b32_e32 v2, 1, v2
	v_mov_b32_e32 v4, s8
	v_cndmask_b32_e32 v2, v2, v4, vcc
	v_cvt_f32_i32_e32 v2, v2
	v_cmp_neq_f32_e32 vcc, 1.0, v3
	s_mov_b32 s8, 0x3f2aaaab
	s_movk_i32 s10, 0x204
	v_cndmask_b32_e32 v4, 1.0, v2, vcc
	v_cmp_neq_f32_e32 vcc, 0, v4
	v_cndmask_b32_e32 v5, 1.0, v3, vcc
	v_frexp_mant_f32_e64 v2, |v5|
	v_cmp_gt_f32_e32 vcc, s8, v2
	v_cndmask_b32_e64 v3, 1.0, 2.0, vcc
	v_mul_f32_e32 v2, v2, v3
	v_add_f32_e32 v3, 1.0, v2
	v_rcp_f32_e32 v6, v3
	v_add_f32_e32 v7, -1.0, v2
	v_add_f32_e32 v8, -1.0, v3
	v_sub_f32_e32 v2, v2, v8
	v_mul_f32_e32 v8, v7, v6
	v_mul_f32_e32 v9, v3, v8
	v_fma_f32 v3, v8, v3, -v9
	v_fmac_f32_e32 v3, v8, v2
	v_add_f32_e32 v2, v9, v3
	v_sub_f32_e32 v10, v7, v2
	v_sub_f32_e32 v9, v2, v9
	;; [unrolled: 1-line block ×5, first 2 shown]
	v_add_f32_e32 v2, v3, v2
	v_add_f32_e32 v2, v10, v2
	v_mul_f32_e32 v2, v6, v2
	v_add_f32_e32 v6, v8, v2
	v_sub_f32_e32 v3, v6, v8
	v_sub_f32_e32 v7, v2, v3
	v_mul_f32_e32 v2, v6, v6
	v_fma_f32 v3, v6, v6, -v2
	v_add_f32_e32 v8, v7, v7
	v_fmac_f32_e32 v3, v6, v8
	v_add_f32_e32 v8, v2, v3
	v_mov_b32_e32 v9, 0x3e91f4c4
	v_sub_f32_e32 v2, v8, v2
	v_fmac_f32_e32 v9, 0x3e76c4e1, v8
	v_mov_b32_e32 v10, 0x3ecccdef
	v_sub_f32_e32 v2, v3, v2
	v_mul_f32_e32 v3, v6, v8
	v_fmac_f32_e32 v10, v8, v9
	v_fma_f32 v9, v8, v6, -v3
	v_fmac_f32_e32 v9, v8, v7
	v_fmac_f32_e32 v9, v2, v6
	v_add_f32_e32 v11, v3, v9
	v_sub_f32_e32 v3, v11, v3
	v_sub_f32_e32 v9, v9, v3
	v_mul_f32_e32 v3, v8, v10
	v_fma_f32 v8, v8, v10, -v3
	v_fmac_f32_e32 v8, v2, v10
	v_add_f32_e32 v10, v3, v8
	v_sub_f32_e32 v2, v10, v3
	v_sub_f32_e32 v8, v8, v2
	v_cvt_f64_f32_e64 v[2:3], |v5|
	v_add_f32_e32 v12, 0x3f2aaaaa, v10
	v_add_f32_e32 v13, 0xbf2aaaaa, v12
	;; [unrolled: 1-line block ×3, first 2 shown]
	v_frexp_exp_i32_f64_e32 v2, v[2:3]
	v_sub_f32_e32 v10, v10, v13
	v_add_f32_e32 v3, v8, v10
	v_add_f32_e32 v8, v12, v3
	v_sub_f32_e32 v10, v12, v8
	v_add_f32_e32 v3, v3, v10
	v_mul_f32_e32 v10, v11, v8
	v_fma_f32 v12, v11, v8, -v10
	v_subbrev_co_u32_e32 v2, vcc, 0, v2, vcc
	v_cvt_f32_i32_e32 v2, v2
	v_fmac_f32_e32 v12, v11, v3
	s_mov_b32 s8, 0x3f317218
	v_fmac_f32_e32 v12, v9, v8
	v_mul_f32_e32 v3, 0x3f317218, v2
	v_fma_f32 v8, v2, s8, -v3
	v_fmac_f32_e32 v8, 0xb102e308, v2
	v_ldexp_f32 v2, v7, 1
	v_add_f32_e32 v7, v3, v8
	v_sub_f32_e32 v3, v7, v3
	v_ldexp_f32 v6, v6, 1
	v_sub_f32_e32 v3, v8, v3
	v_add_f32_e32 v8, v10, v12
	v_sub_f32_e32 v9, v8, v10
	v_add_f32_e32 v10, v6, v8
	v_sub_f32_e32 v9, v12, v9
	v_sub_f32_e32 v6, v10, v6
	;; [unrolled: 1-line block ×3, first 2 shown]
	v_add_f32_e32 v2, v2, v9
	v_add_f32_e32 v2, v2, v6
	;; [unrolled: 1-line block ×3, first 2 shown]
	v_sub_f32_e32 v8, v6, v10
	v_sub_f32_e32 v2, v2, v8
	v_add_f32_e32 v8, v7, v6
	v_sub_f32_e32 v9, v8, v7
	v_sub_f32_e32 v10, v8, v9
	v_sub_f32_e32 v7, v7, v10
	v_sub_f32_e32 v6, v6, v9
	v_add_f32_e32 v6, v6, v7
	v_add_f32_e32 v7, v3, v2
	v_sub_f32_e32 v9, v7, v3
	v_sub_f32_e32 v10, v7, v9
	;; [unrolled: 1-line block ×4, first 2 shown]
	v_add_f32_e32 v2, v2, v3
	v_add_f32_e32 v3, v7, v6
	;; [unrolled: 1-line block ×3, first 2 shown]
	v_sub_f32_e32 v7, v6, v8
	v_sub_f32_e32 v3, v3, v7
	v_add_f32_e32 v2, v2, v3
	v_add_f32_e32 v3, v6, v2
	v_sub_f32_e32 v6, v3, v6
	v_sub_f32_e32 v2, v2, v6
	v_mul_f32_e32 v6, v4, v3
	v_fma_f32 v3, v4, v3, -v6
	v_fmac_f32_e32 v3, v4, v2
	v_add_f32_e32 v2, v6, v3
	v_cmp_class_f32_e64 vcc, v6, s10
	v_sub_f32_e32 v7, v2, v6
	v_cndmask_b32_e32 v2, v2, v6, vcc
	s_mov_b32 s9, 0x42b17218
	v_mov_b32_e32 v6, 0x37000000
	v_cmp_eq_f32_e32 vcc, s9, v2
	v_cndmask_b32_e32 v6, 0, v6, vcc
	v_sub_f32_e32 v3, v3, v7
	v_sub_f32_e32 v7, v2, v6
	s_mov_b32 s11, 0x3fb8aa3b
	v_mul_f32_e32 v8, 0x3fb8aa3b, v7
	v_fma_f32 v9, v7, s11, -v8
	v_rndne_f32_e32 v10, v8
	v_fmac_f32_e32 v9, 0x32a5705f, v7
	v_sub_f32_e32 v8, v8, v10
	v_add_f32_e32 v8, v8, v9
	v_exp_f32_e32 v8, v8
	v_cvt_i32_f32_e32 v9, v10
	s_mov_b32 s8, 0x7f800000
	v_cmp_neq_f32_e64 vcc, |v2|, s8
	s_mov_b32 s8, 0xc2ce8ed0
	v_cndmask_b32_e32 v2, 0, v3, vcc
	v_ldexp_f32 v3, v8, v9
	v_cmp_ngt_f32_e32 vcc, s8, v7
	v_add_f32_e32 v2, v6, v2
	v_cndmask_b32_e32 v3, 0, v3, vcc
	v_mov_b32_e32 v6, 0x7f800000
	v_cmp_nlt_f32_e32 vcc, s9, v7
	v_cndmask_b32_e32 v3, v6, v3, vcc
	v_fma_f32 v2, v3, v2, v3
	v_cmp_class_f32_e64 vcc, v3, s10
	v_cndmask_b32_e32 v2, v2, v3, vcc
	v_trunc_f32_e32 v3, v4
	v_cmp_eq_f32_e32 vcc, v3, v4
	v_mul_f32_e32 v3, 0.5, v4
	v_trunc_f32_e32 v8, v3
	v_cmp_neq_f32_e64 s[8:9], v8, v3
	s_and_b64 s[8:9], vcc, s[8:9]
	v_cndmask_b32_e64 v3, 1.0, v5, s[8:9]
	s_brev_b32 s13, -2
	v_mov_b32_e32 v7, 0x7fc00000
	v_bfi_b32 v2, s13, v2, v3
	v_cndmask_b32_e32 v3, v7, v2, vcc
	v_cmp_gt_f32_e32 vcc, 0, v5
	v_cndmask_b32_e32 v2, v2, v3, vcc
	v_cmp_class_f32_e64 s[14:15], v5, s10
	v_cmp_eq_f32_e32 vcc, 0, v5
	v_cmp_gt_f32_e64 s[10:11], 0, v4
	s_xor_b64 s[10:11], s[10:11], vcc
	v_cndmask_b32_e64 v3, v6, 0, s[10:11]
	v_cndmask_b32_e64 v4, 0, v5, s[8:9]
	v_bfi_b32 v3, s13, v3, v4
	s_or_b64 vcc, vcc, s[14:15]
	v_cndmask_b32_e32 v2, v2, v3, vcc
	v_cmp_o_f32_e32 vcc, v5, v5
	v_cndmask_b32_e32 v23, v7, v2, vcc
.LBB9_2:
	s_load_dwordx16 s[36:51], s[4:5], 0x0
	s_lshl_b32 s33, s6, 1
	v_mov_b32_e32 v6, 0
	v_cmp_lt_u32_e64 s[20:21], 1, v1
	v_cmp_gt_u32_e32 vcc, 2, v1
	v_lshlrev_b32_e32 v21, 2, v0
	buffer_store_dword v6, off, s[0:3], 0
	buffer_store_dword v6, off, s[0:3], 0 offset:4
	buffer_store_dword v6, off, s[0:3], 0 offset:8
	;; [unrolled: 1-line block ×3, first 2 shown]
	s_and_saveexec_b64 s[14:15], vcc
	s_cbranch_execz .LBB9_23
; %bb.3:
	v_lshlrev_b32_e32 v5, 7, v1
	v_or_b32_e32 v2, s33, v1
	v_cmp_le_i32_e64 s[8:9], s22, v2
	v_cmp_gt_u32_e32 vcc, 16, v0
	v_add_u32_e32 v4, v5, v21
	s_and_saveexec_b64 s[10:11], s[8:9]
	s_xor_b64 s[10:11], exec, s[10:11]
	s_cbranch_execz .LBB9_9
; %bb.4:
	s_and_saveexec_b64 s[8:9], vcc
; %bb.5:
	v_mov_b32_e32 v2, 0
	ds_write_b32 v4, v2
; %bb.6:
	s_or_b64 exec, exec, s[8:9]
	v_cmp_gt_u32_e64 s[8:9], 2, v0
	s_and_saveexec_b64 s[16:17], s[8:9]
; %bb.7:
	v_mov_b32_e32 v2, 0
	v_add_u32_e32 v4, v4, v21
	v_mov_b32_e32 v3, v2
	ds_write_b64 v4, v[2:3] offset:64
; %bb.8:
	s_or_b64 exec, exec, s[16:17]
                                        ; implicit-def: $vgpr4
                                        ; implicit-def: $vgpr5
.LBB9_9:
	s_andn2_saveexec_b64 s[8:9], s[10:11]
	s_cbranch_execz .LBB9_23
; %bb.10:
	s_load_dwordx4 s[8:11], s[4:5], 0x70
	v_lshlrev_b32_e32 v8, 2, v21
	v_mov_b32_e32 v10, 0
	s_waitcnt lgkmcnt(0)
	s_mul_i32 s10, s54, s10
	s_mul_i32 s11, s8, s33
	;; [unrolled: 1-line block ×3, first 2 shown]
	v_mul_lo_u32 v2, s8, v1
	s_add_i32 s8, s10, s11
	s_add_i32 s8, s8, s9
	s_ashr_i32 s9, s8, 31
	s_add_u32 s8, s36, s8
	s_addc_u32 s9, s37, s9
	v_ashrrev_i32_e32 v3, 31, v2
	v_mov_b32_e32 v7, s9
	v_add_co_u32_e64 v2, s[8:9], s8, v2
	v_addc_co_u32_e64 v3, s[8:9], v7, v3, s[8:9]
	v_add_co_u32_e64 v2, s[8:9], v2, v8
	v_mov_b32_e32 v7, 0
	v_addc_co_u32_e64 v3, s[8:9], 0, v3, s[8:9]
	s_and_saveexec_b64 s[8:9], vcc
	s_cbranch_execz .LBB9_12
; %bb.11:
	global_load_dword v8, v[2:3], off
	s_waitcnt vmcnt(0)
	v_mul_f32_e32 v10, s12, v8
.LBB9_12:
	s_or_b64 exec, exec, s[8:9]
	s_and_saveexec_b64 s[8:9], vcc
	s_cbranch_execz .LBB9_14
; %bb.13:
	global_load_dword v7, v[2:3], off offset:4
	s_waitcnt vmcnt(0)
	v_mul_f32_e32 v7, s12, v7
.LBB9_14:
	s_or_b64 exec, exec, s[8:9]
	v_mov_b32_e32 v8, 0
	v_mov_b32_e32 v9, 0
	s_and_saveexec_b64 s[8:9], vcc
	s_cbranch_execz .LBB9_16
; %bb.15:
	global_load_dword v9, v[2:3], off offset:8
	s_waitcnt vmcnt(0)
	v_mul_f32_e32 v9, s12, v9
.LBB9_16:
	s_or_b64 exec, exec, s[8:9]
	s_and_saveexec_b64 s[8:9], vcc
	s_cbranch_execz .LBB9_18
; %bb.17:
	global_load_dword v2, v[2:3], off offset:12
	s_waitcnt vmcnt(0)
	v_mul_f32_e32 v8, s12, v2
.LBB9_18:
	s_or_b64 exec, exec, s[8:9]
	v_mbcnt_lo_u32_b32 v2, -1, 0
	v_mbcnt_hi_u32_b32 v2, -1, v2
	v_and_b32_e32 v3, 0x60, v2
	v_add_u32_e32 v3, 32, v3
	v_xor_b32_e32 v11, 4, v2
	v_cmp_lt_i32_e32 vcc, v11, v3
	v_max_f32_e64 v12, |v7|, |v7|
	v_max_f32_e64 v13, |v10|, |v10|
	v_cndmask_b32_e32 v11, v2, v11, vcc
	v_max_f32_e32 v12, v13, v12
	v_lshlrev_b32_e32 v11, 2, v11
	v_max3_f32 v12, v12, |v9|, |v8|
	ds_bpermute_b32 v13, v11, v12
	v_xor_b32_e32 v14, 2, v2
	v_cmp_lt_i32_e32 vcc, v14, v3
	v_cndmask_b32_e32 v14, v2, v14, vcc
	v_lshlrev_b32_e32 v14, 2, v14
	s_waitcnt lgkmcnt(0)
	v_max_f32_e32 v13, v13, v13
	v_max_f32_e32 v12, v12, v13
	ds_bpermute_b32 v13, v14, v12
	v_xor_b32_e32 v15, 1, v2
	v_cmp_lt_i32_e32 vcc, v15, v3
	v_cndmask_b32_e32 v2, v2, v15, vcc
	v_lshlrev_b32_e32 v2, 2, v2
	s_waitcnt lgkmcnt(0)
	v_max_f32_e32 v3, v13, v13
	v_max_f32_e32 v3, v12, v3
	ds_bpermute_b32 v12, v2, v3
	s_mov_b32 s10, 0x42fe0000
	v_add_f32_e32 v16, v10, v7
	v_add_f32_e32 v16, v16, v9
	;; [unrolled: 1-line block ×3, first 2 shown]
	s_waitcnt lgkmcnt(0)
	v_max_f32_e32 v12, v12, v12
	v_max_f32_e32 v13, v3, v12
	v_div_scale_f32 v3, s[8:9], s10, s10, v13
	v_div_scale_f32 v12, vcc, v13, s10, v13
	v_rcp_f32_e32 v15, v3
	v_fma_f32 v17, -v3, v15, 1.0
	v_fmac_f32_e32 v15, v17, v15
	v_mul_f32_e32 v17, v12, v15
	v_fma_f32 v18, -v3, v17, v12
	v_fmac_f32_e32 v17, v18, v15
	v_fma_f32 v3, -v3, v17, v12
	v_div_fmas_f32 v15, v3, v15, v17
	ds_bpermute_b32 v3, v11, v16
	v_mov_b32_e32 v12, 0
	s_waitcnt lgkmcnt(0)
	v_add_f32_e32 v3, v16, v3
	ds_bpermute_b32 v11, v14, v3
	s_waitcnt lgkmcnt(0)
	v_add_f32_e32 v3, v3, v11
	ds_bpermute_b32 v11, v2, v3
	v_div_fixup_f32 v2, v15, s10, v13
	v_cmp_neq_f32_e32 vcc, 0, v2
	s_and_saveexec_b64 s[16:17], vcc
	s_cbranch_execz .LBB9_20
; %bb.19:
	v_div_scale_f32 v12, s[8:9], v2, v2, v10
	v_div_scale_f32 v15, vcc, v10, v2, v10
	v_div_scale_f32 v13, s[8:9], v2, v2, v7
	v_div_scale_f32 v14, s[8:9], v2, v2, v9
	;; [unrolled: 1-line block ×5, first 2 shown]
	s_brev_b32 s25, -2
	v_rcp_f32_e32 v18, v12
	v_rcp_f32_e32 v20, v13
	v_fma_f32 v24, -v12, v18, 1.0
	v_fmac_f32_e32 v18, v24, v18
	v_mul_f32_e32 v24, v15, v18
	v_fma_f32 v25, -v12, v24, v15
	v_fmac_f32_e32 v24, v25, v18
	v_fma_f32 v12, -v12, v24, v15
	v_div_fmas_f32 v12, v12, v18, v24
	v_div_scale_f32 v15, s[12:13], v8, v2, v8
	v_fma_f32 v18, -v13, v20, 1.0
	v_fmac_f32_e32 v20, v18, v20
	v_mul_f32_e32 v18, v16, v20
	v_fma_f32 v25, -v13, v18, v16
	v_fmac_f32_e32 v18, v25, v20
	v_rcp_f32_e32 v22, v14
	v_fma_f32 v13, -v13, v18, v16
	s_mov_b64 vcc, s[8:9]
	v_div_fmas_f32 v13, v13, v20, v18
	v_fma_f32 v24, -v14, v22, 1.0
	v_fmac_f32_e32 v22, v24, v22
	v_mul_f32_e32 v24, v17, v22
	v_fma_f32 v26, -v14, v24, v17
	v_div_fixup_f32 v10, v12, v2, v10
	v_trunc_f32_e32 v12, v10
	v_sub_f32_e32 v16, v10, v12
	v_cmp_ge_f32_e64 s[8:9], |v16|, 0.5
	v_cndmask_b32_e64 v16, 0, 1.0, s[8:9]
	v_bfi_b32 v10, s25, v16, v10
	v_add_f32_e32 v10, v12, v10
	v_rcp_f32_e32 v12, v19
	v_fmac_f32_e32 v24, v26, v22
	v_fma_f32 v14, -v14, v24, v17
	s_mov_b64 vcc, s[10:11]
	v_fma_f32 v16, -v19, v12, 1.0
	v_fmac_f32_e32 v12, v16, v12
	v_div_fmas_f32 v14, v14, v22, v24
	v_mul_f32_e32 v16, v15, v12
	v_fma_f32 v17, -v19, v16, v15
	v_fmac_f32_e32 v16, v17, v12
	v_fma_f32 v15, -v19, v16, v15
	s_mov_b64 vcc, s[12:13]
	v_div_fmas_f32 v12, v15, v12, v16
	v_div_fixup_f32 v7, v13, v2, v7
	v_trunc_f32_e32 v13, v7
	v_sub_f32_e32 v15, v7, v13
	v_cmp_ge_f32_e64 s[8:9], |v15|, 0.5
	v_cndmask_b32_e64 v15, 0, 1.0, s[8:9]
	v_bfi_b32 v7, s25, v15, v7
	v_add_f32_e32 v7, v13, v7
	v_cvt_i32_f32_e32 v10, v10
	v_cvt_i32_f32_e32 v7, v7
	v_div_fixup_f32 v9, v14, v2, v9
	v_trunc_f32_e32 v13, v9
	v_sub_f32_e32 v14, v9, v13
	v_cmp_ge_f32_e64 s[8:9], |v14|, 0.5
	v_cndmask_b32_e64 v14, 0, 1.0, s[8:9]
	v_bfi_b32 v9, s25, v14, v9
	v_div_fixup_f32 v8, v12, v2, v8
	v_trunc_f32_e32 v12, v8
	v_add_f32_e32 v9, v13, v9
	v_sub_f32_e32 v13, v8, v12
	v_cmp_ge_f32_e64 s[8:9], |v13|, 0.5
	v_cndmask_b32_e64 v13, 0, 1.0, s[8:9]
	v_cvt_i32_f32_e32 v9, v9
	v_bfi_b32 v8, s25, v13, v8
	v_add_f32_e32 v8, v12, v8
	v_cvt_i32_f32_e32 v8, v8
	v_and_b32_e32 v9, 0xff, v9
	v_lshlrev_b32_e32 v9, 16, v9
	v_lshl_or_b32 v8, v8, 24, v9
	v_mov_b32_e32 v9, 8
	v_lshlrev_b32_sdwa v7, v9, v7 dst_sel:DWORD dst_unused:UNUSED_PAD src0_sel:DWORD src1_sel:BYTE_0
	v_and_b32_e32 v9, 0xff, v10
	v_or3_b32 v12, v8, v7, v9
.LBB9_20:
	s_or_b64 exec, exec, s[16:17]
	v_and_b32_e32 v7, 0x77, v0
	v_cmp_eq_u32_e32 vcc, 0, v7
	ds_write_b32 v4, v12
	s_and_saveexec_b64 s[8:9], vcc
	s_cbranch_execz .LBB9_22
; %bb.21:
	s_waitcnt lgkmcnt(1)
	v_add_f32_e32 v3, v3, v11
	v_add_u32_e32 v4, v5, v0
	ds_write_b64 v4, v[2:3] offset:64
.LBB9_22:
	s_or_b64 exec, exec, s[8:9]
.LBB9_23:
	s_or_b64 exec, exec, s[14:15]
	v_and_b32_e32 v26, 3, v0
	v_lshlrev_b32_e32 v16, 2, v26
	s_waitcnt vmcnt(0) lgkmcnt(0)
	s_barrier
	ds_read2_b32 v[10:11], v16 offset1:4
	ds_read2_b32 v[12:13], v16 offset0:8 offset1:12
	ds_read2_b32 v[14:15], v16 offset0:32 offset1:36
	ds_read_b128 v[2:5], v6 offset:64
	ds_read_b128 v[6:9], v6 offset:192
	ds_read2_b32 v[16:17], v16 offset0:40 offset1:44
	s_cmp_eq_u64 s[46:47], 0
	s_mov_b32 s25, s52
	s_waitcnt lgkmcnt(0)
	s_barrier
	s_cbranch_scc1 .LBB9_25
; %bb.24:
	s_load_dword s8, s[4:5], 0xd0
	s_mov_b32 s9, 0
	s_waitcnt lgkmcnt(0)
	s_mul_i32 s8, s8, s54
	s_add_i32 s8, s8, s6
	s_lshl_b64 s[8:9], s[8:9], 2
	s_add_u32 s8, s46, s8
	s_addc_u32 s9, s47, s9
	s_load_dword s25, s[8:9], 0x0
.LBB9_25:
	v_lshlrev_b32_e32 v39, 5, v1
	v_add_u32_e32 v20, v39, v0
	s_lshl_b32 s26, s7, 7
	s_mov_b32 s27, 0
	s_waitcnt lgkmcnt(0)
	s_cmp_ge_i32 s26, s25
	v_mbcnt_lo_u32_b32 v24, -1, 0
	v_lshlrev_b32_e32 v22, 1, v20
	s_cbranch_scc1 .LBB9_45
; %bb.26:
	s_sub_i32 s6, 0, s30
	s_sub_i32 s8, 0, s28
	s_mul_i32 s6, s6, s19
	s_mul_i32 s8, s8, s18
	s_mul_hi_u32 s6, s19, s6
	s_mul_hi_u32 s8, s18, s8
	s_abs_i32 s10, s24
	s_add_i32 s19, s19, s6
	s_abs_i32 s6, s54
	s_add_i32 s18, s18, s8
	s_mul_hi_u32 s11, s10, s19
	s_mul_hi_u32 s12, s6, s18
	s_load_dwordx2 s[46:47], s[4:5], 0x8c
	s_load_dwordx4 s[16:19], s[4:5], 0x98
	s_ashr_i32 s13, s24, 31
	s_ashr_i32 s14, s31, 31
	;; [unrolled: 1-line block ×3, first 2 shown]
	s_xor_b32 s13, s13, s14
	s_waitcnt lgkmcnt(0)
	s_mul_hi_u32 s15, s16, s54
	s_mul_i32 s31, s16, s55
	s_mul_i32 s14, s11, s30
	s_add_i32 s56, s15, s31
	s_mul_i32 s15, s17, s54
	s_sub_i32 s10, s10, s14
	s_add_i32 s56, s56, s15
	s_add_i32 s14, s11, 1
	s_sub_i32 s15, s10, s30
	s_cmp_ge_u32 s10, s30
	s_cselect_b32 s11, s14, s11
	s_cselect_b32 s10, s15, s10
	s_add_i32 s14, s11, 1
	s_cmp_ge_u32 s10, s30
	s_cselect_b32 s10, s14, s11
	s_xor_b32 s10, s10, s13
	s_sub_i32 s10, s10, s13
	s_mul_i32 s12, s12, s28
	s_mul_i32 s58, s10, s47
	;; [unrolled: 1-line block ×3, first 2 shown]
	s_sub_i32 s6, s6, s12
	s_ashr_i32 s59, s58, 31
	s_ashr_i32 s53, s19, 31
	s_sub_i32 s10, s6, s28
	s_cmp_ge_u32 s6, s28
	s_cselect_b32 s6, s10, s6
	s_sub_i32 s10, s6, s28
	s_load_dwordx2 s[8:9], s[4:5], 0xc8
	s_cmp_ge_u32 s6, s28
	s_cselect_b32 s6, s10, s6
	s_xor_b32 s6, s6, s55
	s_sub_i32 s6, s6, s55
	s_ashr_i32 s10, s6, 31
	s_mul_i32 s57, s16, s54
	s_load_dword s11, s[4:5], 0xd4
	s_load_dwordx2 s[16:17], s[4:5], 0xa8
	s_waitcnt lgkmcnt(0)
	s_mul_i32 s10, s8, s10
	s_mul_hi_u32 s12, s8, s6
	s_add_i32 s10, s12, s10
	s_mul_i32 s9, s9, s6
	s_mul_i32 s63, s8, s6
	;; [unrolled: 1-line block ×3, first 2 shown]
	s_add_i32 s62, s10, s9
	s_ashr_i32 s47, s6, 31
	v_mbcnt_hi_u32_b32 v29, -1, v24
	v_and_b32_e32 v19, 0x7c, v29
	s_cmp_lg_u64 s[42:43], 0
	v_add_u32_e32 v25, 4, v19
	v_xor_b32_e32 v19, 2, v29
	s_cselect_b64 s[8:9], -1, 0
	s_lshl_b32 s28, s11, 7
	v_cmp_lt_i32_e32 vcc, v19, v25
	v_xor_b32_e32 v27, 1, v29
	s_cmp_lt_i32 s33, s22
	v_cndmask_b32_e32 v19, v29, v19, vcc
	v_cmp_lt_i32_e32 vcc, v27, v25
	s_cselect_b64 s[10:11], -1, 0
	v_cndmask_b32_e32 v25, v29, v27, vcc
	v_and_b32_e32 v27, 0x60, v29
	s_and_b64 s[30:31], s[8:9], s[10:11]
	s_or_b32 s10, s33, 1
	v_add_u32_e32 v30, 32, v27
	s_cmp_lt_i32 s10, s22
	v_xor_b32_e32 v32, 4, v29
	s_cselect_b64 s[10:11], -1, 0
	v_cmp_lt_i32_e32 vcc, v32, v30
	s_and_b64 s[34:35], s[8:9], s[10:11]
	v_cndmask_b32_e32 v111, v29, v32, vcc
	v_xor_b32_e32 v32, 8, v29
	s_ashr_i32 s8, s52, 31
	v_cmp_lt_i32_e32 vcc, v32, v30
	s_add_u32 s29, s38, s58
	v_and_b32_e32 v18, 0x7c, v0
	v_cndmask_b32_e32 v112, v29, v32, vcc
	v_xor_b32_e32 v32, 16, v29
	s_addc_u32 s36, s39, s59
	v_add_u32_e32 v18, v39, v18
	v_cmp_lt_i32_e32 vcc, v32, v30
	s_add_u32 s37, s29, s57
	v_add_u32_e32 v27, s52, v18
	v_cndmask_b32_e32 v113, v29, v32, vcc
	v_add_co_u32_e32 v29, vcc, s52, v18
	s_addc_u32 s52, s36, s56
	s_lshl_b64 s[60:61], s[26:27], 1
	v_mov_b32_e32 v30, s8
	s_add_u32 s8, s42, s60
	v_and_b32_e32 v31, 12, v21
	v_mul_lo_u32 v45, v18, s46
	v_ashrrev_i32_e32 v28, 31, v27
	v_addc_co_u32_e32 v30, vcc, 0, v30, vcc
	s_addc_u32 s9, s43, s61
	v_mov_b32_e32 v32, s56
	v_add_co_u32_e32 v43, vcc, s57, v31
	v_lshlrev_b64 v[27:28], 1, v[27:28]
	s_add_u32 s8, s8, s63
	v_addc_co_u32_e32 v44, vcc, 0, v32, vcc
	s_addc_u32 s9, s9, s62
	v_mov_b32_e32 v31, s9
	v_add_co_u32_e32 v27, vcc, s8, v27
	v_lshlrev_b64 v[29:30], 1, v[29:30]
	v_add_u32_e32 v41, s46, v45
	v_addc_co_u32_e32 v28, vcc, v31, v28, vcc
	v_add_u32_e32 v37, s46, v41
	v_add_co_u32_e32 v29, vcc, s8, v29
	v_add_u32_e32 v33, s46, v37
	v_addc_co_u32_e32 v30, vcc, v31, v30, vcc
	v_ashrrev_i32_e32 v34, 31, v33
	v_add_co_u32_e32 v31, vcc, v43, v33
	v_addc_co_u32_e32 v32, vcc, v44, v34, vcc
	v_mov_b32_e32 v35, s36
	v_add_co_u32_e32 v31, vcc, s29, v31
	v_addc_co_u32_e32 v32, vcc, v35, v32, vcc
	v_mov_b32_e32 v35, s52
	v_add_co_u32_e32 v33, vcc, s37, v33
	v_addc_co_u32_e32 v34, vcc, v35, v34, vcc
	v_ashrrev_i32_e32 v38, 31, v37
	v_add_co_u32_e32 v35, vcc, v43, v37
	v_addc_co_u32_e32 v36, vcc, v44, v38, vcc
	v_mov_b32_e32 v40, s36
	v_add_co_u32_e32 v35, vcc, s29, v35
	v_addc_co_u32_e32 v36, vcc, v40, v36, vcc
	v_mov_b32_e32 v40, s52
	v_add_co_u32_e32 v37, vcc, s37, v37
	v_addc_co_u32_e32 v38, vcc, v40, v38, vcc
	v_lshrrev_b32_e32 v40, 4, v0
	v_cmp_eq_u32_e64 s[8:9], 0, v26
	v_cmp_eq_u32_e64 s[10:11], 1, v26
	;; [unrolled: 1-line block ×4, first 2 shown]
	v_or_b32_e32 v26, v39, v40
	v_add_u32_e32 v115, v39, v40
	v_ashrrev_i32_e32 v42, 31, v41
	v_add_co_u32_e32 v39, vcc, v43, v41
	v_addc_co_u32_e32 v40, vcc, v44, v42, vcc
	v_mov_b32_e32 v46, s36
	v_add_co_u32_e32 v39, vcc, s29, v39
	v_addc_co_u32_e32 v40, vcc, v46, v40, vcc
	s_mov_b32 s29, s27
	v_add_co_u32_e32 v41, vcc, s37, v41
	s_lshl_b64 s[36:37], s[28:29], 1
	v_mov_b32_e32 v46, s52
	s_add_u32 s27, s63, s60
	v_addc_co_u32_e32 v42, vcc, v46, v42, vcc
	s_addc_u32 s29, s62, s61
	v_mov_b32_e32 v46, s59
	v_add_co_u32_e32 v43, vcc, s58, v43
	s_add_u32 s42, s42, s27
	v_addc_co_u32_e32 v44, vcc, v44, v46, vcc
	s_addc_u32 s43, s43, s29
	v_ashrrev_i32_e32 v46, 31, v45
	v_add_co_u32_e32 v43, vcc, v43, v45
	s_add_u32 s27, s57, s58
	v_addc_co_u32_e32 v44, vcc, v44, v46, vcc
	s_addc_u32 s29, s56, s59
	v_mov_b32_e32 v47, s39
	v_add_co_u32_e32 v43, vcc, s38, v43
	s_add_u32 s27, s38, s27
	v_addc_co_u32_e32 v44, vcc, v47, v44, vcc
	s_addc_u32 s29, s39, s29
	v_mov_b32_e32 v47, s29
	v_add_co_u32_e32 v118, vcc, s27, v45
	v_bfe_u32 v45, v0, 3, 1
	v_addc_co_u32_e32 v119, vcc, v47, v46, vcc
	v_mul_hi_u32_u24_e32 v46, 34, v45
	v_mul_u32_u24_e32 v45, 34, v45
	v_mov_b32_e32 v47, s54
	v_mad_u64_u32 v[107:108], s[38:39], s16, v47, v[45:46]
	v_add_u32_e32 v45, 30, v115
	s_mul_i32 s17, s17, s54
	s_mul_i32 s16, s16, s55
	v_mul_lo_u32 v47, s18, v45
	s_add_i32 s27, s16, s17
	v_and_b32_e32 v45, 28, v21
	v_add_u32_e32 v108, s27, v108
	v_add_co_u32_e32 v105, vcc, v107, v45
	v_addc_co_u32_e32 v106, vcc, 0, v108, vcc
	s_add_u32 s16, s40, s19
	v_ashrrev_i32_e32 v48, 31, v47
	v_add_co_u32_e32 v45, vcc, v105, v47
	s_addc_u32 s17, s41, s53
	v_addc_co_u32_e32 v46, vcc, v106, v48, vcc
	v_mov_b32_e32 v49, s17
	v_add_co_u32_e32 v45, vcc, s16, v45
	v_addc_co_u32_e32 v46, vcc, v49, v46, vcc
	v_add_u32_e32 v50, 28, v115
	v_add_co_u32_e32 v47, vcc, v107, v47
	v_mul_lo_u32 v51, s18, v50
	v_addc_co_u32_e32 v48, vcc, v108, v48, vcc
	v_add_co_u32_e32 v47, vcc, s16, v47
	v_addc_co_u32_e32 v48, vcc, v49, v48, vcc
	v_ashrrev_i32_e32 v52, 31, v51
	v_add_co_u32_e32 v49, vcc, v105, v51
	v_addc_co_u32_e32 v50, vcc, v106, v52, vcc
	v_mov_b32_e32 v53, s17
	v_add_co_u32_e32 v49, vcc, s16, v49
	v_addc_co_u32_e32 v50, vcc, v53, v50, vcc
	v_add_u32_e32 v54, 26, v115
	v_add_co_u32_e32 v51, vcc, v107, v51
	v_mul_lo_u32 v55, s18, v54
	v_addc_co_u32_e32 v52, vcc, v108, v52, vcc
	v_add_co_u32_e32 v51, vcc, s16, v51
	v_addc_co_u32_e32 v52, vcc, v53, v52, vcc
	v_ashrrev_i32_e32 v56, 31, v55
	v_add_co_u32_e32 v53, vcc, v105, v55
	;; [unrolled: 12-line block ×6, first 2 shown]
	v_addc_co_u32_e32 v70, vcc, v106, v72, vcc
	v_mov_b32_e32 v73, s17
	v_add_co_u32_e32 v69, vcc, s16, v69
	v_addc_co_u32_e32 v70, vcc, v73, v70, vcc
	v_add_u32_e32 v74, 16, v115
	v_add_co_u32_e32 v71, vcc, v107, v71
	v_mul_lo_u32 v75, s18, v74
	v_addc_co_u32_e32 v72, vcc, v108, v72, vcc
	v_add_co_u32_e32 v71, vcc, s16, v71
	buffer_load_dword v125, off, s[0:3], 0
	buffer_load_dword v126, off, s[0:3], 0 offset:4
	buffer_load_dword v123, off, s[0:3], 0 offset:8
	;; [unrolled: 1-line block ×3, first 2 shown]
	v_addc_co_u32_e32 v72, vcc, v73, v72, vcc
	v_ashrrev_i32_e32 v76, 31, v75
	v_add_co_u32_e32 v73, vcc, v105, v75
	v_addc_co_u32_e32 v74, vcc, v106, v76, vcc
	v_mov_b32_e32 v77, s17
	v_add_co_u32_e32 v73, vcc, s16, v73
	v_addc_co_u32_e32 v74, vcc, v77, v74, vcc
	v_add_u32_e32 v78, 14, v115
	v_add_co_u32_e32 v75, vcc, v107, v75
	v_mul_lo_u32 v79, s18, v78
	v_addc_co_u32_e32 v76, vcc, v108, v76, vcc
	v_add_co_u32_e32 v75, vcc, s16, v75
	v_addc_co_u32_e32 v76, vcc, v77, v76, vcc
	v_ashrrev_i32_e32 v80, 31, v79
	v_add_co_u32_e32 v77, vcc, v105, v79
	v_addc_co_u32_e32 v78, vcc, v106, v80, vcc
	v_mov_b32_e32 v81, s17
	v_add_co_u32_e32 v77, vcc, s16, v77
	v_addc_co_u32_e32 v78, vcc, v81, v78, vcc
	v_add_u32_e32 v82, 12, v115
	v_add_co_u32_e32 v79, vcc, v107, v79
	v_mul_lo_u32 v83, s18, v82
	v_addc_co_u32_e32 v80, vcc, v108, v80, vcc
	v_add_co_u32_e32 v79, vcc, s16, v79
	;; [unrolled: 12-line block ×7, first 2 shown]
	v_addc_co_u32_e32 v100, vcc, v101, v100, vcc
	v_ashrrev_i32_e32 v104, 31, v103
	v_add_co_u32_e32 v101, vcc, v105, v103
	v_addc_co_u32_e32 v102, vcc, v106, v104, vcc
	v_mov_b32_e32 v109, s17
	v_add_co_u32_e32 v101, vcc, s16, v101
	v_addc_co_u32_e32 v102, vcc, v109, v102, vcc
	v_add_co_u32_e32 v103, vcc, v107, v103
	v_addc_co_u32_e32 v104, vcc, v108, v104, vcc
	v_add_co_u32_e32 v103, vcc, s16, v103
	v_mul_lo_u32 v110, s18, v115
	v_addc_co_u32_e32 v104, vcc, v109, v104, vcc
	v_mov_b32_e32 v109, s53
	v_add_co_u32_e32 v105, vcc, s19, v105
	v_addc_co_u32_e32 v106, vcc, v106, v109, vcc
	v_ashrrev_i32_e32 v109, 31, v110
	v_add_co_u32_e32 v105, vcc, v105, v110
	v_addc_co_u32_e32 v106, vcc, v106, v109, vcc
	v_mov_b32_e32 v114, s41
	v_add_co_u32_e32 v105, vcc, s40, v105
	v_addc_co_u32_e32 v106, vcc, v114, v106, vcc
	v_mov_b32_e32 v114, s53
	v_add_co_u32_e32 v107, vcc, s19, v107
	v_addc_co_u32_e32 v108, vcc, v108, v114, vcc
	v_add_co_u32_e32 v107, vcc, v107, v110
	v_addc_co_u32_e32 v108, vcc, v108, v109, vcc
	v_mov_b32_e32 v109, s41
	v_add_co_u32_e32 v107, vcc, s40, v107
	v_addc_co_u32_e32 v108, vcc, v109, v108, vcc
	v_lshlrev_b32_e32 v18, 1, v18
	v_lshlrev_b32_e32 v109, 2, v19
	v_mov_b32_e32 v19, s43
	v_add_co_u32_e32 v116, vcc, s42, v18
	v_addc_co_u32_e32 v117, vcc, 0, v19, vcc
	v_add_co_u32_e32 v118, vcc, 18, v118
	s_mul_i32 s27, s18, s26
	s_mul_i32 s29, s46, s26
	v_lshlrev_b32_e32 v110, 2, v25
	s_mul_i32 s38, s28, s46
	s_mul_i32 s39, s28, s18
	v_lshlrev_b32_e32 v111, 2, v111
	v_lshlrev_b32_e32 v112, 2, v112
	;; [unrolled: 1-line block ×5, first 2 shown]
	v_addc_co_u32_e32 v119, vcc, 0, v119, vcc
	s_mov_b32 s40, 0x3fb8aa3b
	s_mov_b32 s41, 0xc2ce8ed0
	;; [unrolled: 1-line block ×3, first 2 shown]
	v_mov_b32_e32 v25, 0
	v_mov_b32_e32 v128, 0xfeffffff
	;; [unrolled: 1-line block ×7, first 2 shown]
.LBB9_27:                               ; =>This Inner Loop Header: Depth=1
	v_add_co_u32_e32 v18, vcc, s29, v43
	v_addc_co_u32_e32 v19, vcc, 0, v44, vcc
	global_load_dword v129, v[18:19], off offset:2
	global_load_dword v133, v[18:19], off offset:20
	v_add_co_u32_e32 v18, vcc, s29, v118
	v_addc_co_u32_e32 v19, vcc, 0, v119, vcc
	global_load_ushort v131, v[18:19], off offset:-18
	global_load_ushort v130, v[18:19], off
	s_and_b64 vcc, exec, s[30:31]
	s_waitcnt vmcnt(3)
	v_and_b32_e32 v132, 0xf0f0f0f, v129
	v_lshrrev_b32_e32 v18, 4, v129
	s_waitcnt vmcnt(2)
	v_and_b32_e32 v129, 0xf0f0f0f, v133
	v_lshrrev_b32_e32 v19, 4, v133
	v_and_b32_e32 v133, 0xf0f0f0f, v18
	v_dot4_i32_i8 v18, v132, v10, 0
	v_dot4_i32_i8 v135, v133, v11, 0
	v_cvt_f32_i32_e32 v18, v18
	v_and_b32_e32 v19, 0xf0f0f0f, v19
	v_dot4_i32_i8 v134, v129, v12, 0
	v_cvt_f32_i32_e32 v135, v135
	v_dot4_i32_i8 v136, v19, v13, 0
	v_cvt_f32_i32_e32 v134, v134
	v_cvt_f32_i32_e32 v136, v136
	v_fma_f32 v18, v2, v18, -v3
	v_fma_f32 v135, v2, v135, -v3
	s_waitcnt vmcnt(1)
	v_fma_mix_f32 v18, v18, v131, 0 op_sel_hi:[0,1,0]
	v_fma_f32 v134, v4, v134, -v5
	v_fma_mix_f32 v18, v135, v131, v18 op_sel_hi:[0,1,0]
	v_fma_f32 v136, v4, v136, -v5
	s_waitcnt vmcnt(0)
	v_fma_mix_f32 v18, v134, v130, v18 op_sel_hi:[0,1,0]
	v_fma_mix_f32 v18, v136, v130, v18 op_sel_hi:[0,1,0]
	ds_bpermute_b32 v134, v109, v18
	s_waitcnt lgkmcnt(0)
	v_add_f32_e32 v18, v18, v134
	ds_bpermute_b32 v134, v110, v18
	s_waitcnt lgkmcnt(0)
	v_add_f32_e32 v18, v18, v134
	s_cbranch_vccz .LBB9_29
; %bb.28:                               ;   in Loop: Header=BB9_27 Depth=1
	v_mov_b32_e32 v135, s47
	v_add_co_u32_e32 v134, vcc, s6, v116
	v_addc_co_u32_e32 v135, vcc, v117, v135, vcc
	global_load_ushort v134, v[134:135], off
	s_waitcnt vmcnt(0)
	v_fma_mix_f32 v18, v23, v134, v18 op_sel_hi:[0,1,0]
.LBB9_29:                               ;   in Loop: Header=BB9_27 Depth=1
	v_dot4_i32_i8 v132, v132, v14, 0
	v_cvt_f32_i32_e32 v132, v132
	v_dot4_i32_i8 v133, v133, v15, 0
	v_cvt_f32_f16_e32 v131, v131
	v_cvt_f32_i32_e32 v133, v133
	v_dot4_i32_i8 v129, v129, v16, 0
	v_cvt_f32_i32_e32 v129, v129
	v_dot4_i32_i8 v19, v19, v17, 0
	v_cvt_f32_f16_e32 v130, v130
	v_cvt_f32_i32_e32 v19, v19
	v_fma_f32 v132, v6, v132, -v7
	v_fma_f32 v132, v132, v131, 0
	v_fma_f32 v133, v6, v133, -v7
	v_fmac_f32_e32 v132, v133, v131
	v_fma_f32 v129, v8, v129, -v9
	v_fmac_f32_e32 v132, v129, v130
	;; [unrolled: 2-line block ×3, first 2 shown]
	ds_bpermute_b32 v19, v109, v132
	v_cndmask_b32_e64 v130, 0, 1, s[34:35]
	v_cmp_ne_u32_e64 s[16:17], 1, v130
	s_andn2_b64 vcc, exec, s[34:35]
	s_waitcnt lgkmcnt(0)
	v_add_f32_e32 v19, v132, v19
	ds_bpermute_b32 v129, v110, v19
	s_waitcnt lgkmcnt(0)
	v_add_f32_e32 v19, v19, v129
	s_cbranch_vccnz .LBB9_31
; %bb.30:                               ;   in Loop: Header=BB9_27 Depth=1
	v_mov_b32_e32 v130, s47
	v_add_co_u32_e32 v129, vcc, s6, v27
	v_addc_co_u32_e32 v130, vcc, v28, v130, vcc
	global_load_ushort v129, v[129:130], off
	s_waitcnt vmcnt(0)
	v_fma_mix_f32 v19, v23, v129, v19 op_sel_hi:[0,1,0]
.LBB9_31:                               ;   in Loop: Header=BB9_27 Depth=1
	v_add_co_u32_e32 v129, vcc, s29, v39
	v_addc_co_u32_e32 v130, vcc, 0, v40, vcc
	global_load_dword v131, v[129:130], off offset:2
	global_load_dword v135, v[129:130], off offset:20
	v_add_co_u32_e32 v129, vcc, s29, v41
	v_addc_co_u32_e32 v130, vcc, 0, v42, vcc
	global_load_ushort v133, v[129:130], off
	global_load_ushort v132, v[129:130], off offset:18
	s_andn2_b64 vcc, exec, s[30:31]
	s_waitcnt vmcnt(3)
	v_and_b32_e32 v134, 0xf0f0f0f, v131
	v_lshrrev_b32_e32 v129, 4, v131
	s_waitcnt vmcnt(2)
	v_and_b32_e32 v131, 0xf0f0f0f, v135
	v_lshrrev_b32_e32 v130, 4, v135
	v_and_b32_e32 v135, 0xf0f0f0f, v129
	v_dot4_i32_i8 v129, v134, v10, 0
	v_dot4_i32_i8 v137, v135, v11, 0
	v_cvt_f32_i32_e32 v129, v129
	v_and_b32_e32 v130, 0xf0f0f0f, v130
	v_dot4_i32_i8 v136, v131, v12, 0
	v_cvt_f32_i32_e32 v137, v137
	v_dot4_i32_i8 v138, v130, v13, 0
	v_cvt_f32_i32_e32 v136, v136
	v_cvt_f32_i32_e32 v138, v138
	v_fma_f32 v129, v2, v129, -v3
	v_fma_f32 v137, v2, v137, -v3
	s_waitcnt vmcnt(1)
	v_fma_mix_f32 v129, v129, v133, 0 op_sel_hi:[0,1,0]
	v_fma_mix_f32 v129, v137, v133, v129 op_sel_hi:[0,1,0]
	v_fma_f32 v136, v4, v136, -v5
	v_fma_f32 v138, v4, v138, -v5
	s_waitcnt vmcnt(0)
	v_fma_mix_f32 v129, v136, v132, v129 op_sel_hi:[0,1,0]
	v_fma_mix_f32 v129, v138, v132, v129 op_sel_hi:[0,1,0]
	ds_bpermute_b32 v136, v109, v129
	v_cndmask_b32_e64 v137, 0, 1, s[30:31]
	v_cmp_ne_u32_e64 s[18:19], 1, v137
	s_waitcnt lgkmcnt(0)
	v_add_f32_e32 v129, v129, v136
	ds_bpermute_b32 v136, v110, v129
	s_waitcnt lgkmcnt(0)
	v_add_f32_e32 v129, v129, v136
	s_cbranch_vccnz .LBB9_33
; %bb.32:                               ;   in Loop: Header=BB9_27 Depth=1
	v_mov_b32_e32 v137, s47
	v_add_co_u32_e32 v136, vcc, s6, v116
	v_addc_co_u32_e32 v137, vcc, v117, v137, vcc
	global_load_ushort v136, v[136:137], off offset:2
	s_waitcnt vmcnt(0)
	v_fma_mix_f32 v129, v23, v136, v129 op_sel_hi:[0,1,0]
.LBB9_33:                               ;   in Loop: Header=BB9_27 Depth=1
	v_dot4_i32_i8 v134, v134, v14, 0
	v_cvt_f32_i32_e32 v134, v134
	v_dot4_i32_i8 v135, v135, v15, 0
	v_cvt_f32_f16_e32 v133, v133
	v_cvt_f32_i32_e32 v135, v135
	v_dot4_i32_i8 v131, v131, v16, 0
	v_cvt_f32_i32_e32 v131, v131
	v_dot4_i32_i8 v130, v130, v17, 0
	v_cvt_f32_f16_e32 v132, v132
	v_cvt_f32_i32_e32 v130, v130
	v_fma_f32 v134, v6, v134, -v7
	v_fma_f32 v134, v134, v133, 0
	v_fma_f32 v135, v6, v135, -v7
	v_fmac_f32_e32 v134, v135, v133
	v_fma_f32 v131, v8, v131, -v9
	v_fmac_f32_e32 v134, v131, v132
	;; [unrolled: 2-line block ×3, first 2 shown]
	ds_bpermute_b32 v130, v109, v134
	s_and_b64 vcc, exec, s[16:17]
	s_waitcnt lgkmcnt(0)
	v_add_f32_e32 v130, v134, v130
	ds_bpermute_b32 v131, v110, v130
	s_waitcnt lgkmcnt(0)
	v_add_f32_e32 v130, v130, v131
	s_cbranch_vccnz .LBB9_35
; %bb.34:                               ;   in Loop: Header=BB9_27 Depth=1
	v_mov_b32_e32 v132, s47
	v_add_co_u32_e32 v131, vcc, s6, v29
	v_addc_co_u32_e32 v132, vcc, v30, v132, vcc
	global_load_ushort v131, v[131:132], off offset:2
	s_waitcnt vmcnt(0)
	v_fma_mix_f32 v130, v23, v131, v130 op_sel_hi:[0,1,0]
.LBB9_35:                               ;   in Loop: Header=BB9_27 Depth=1
	v_add_co_u32_e32 v131, vcc, s29, v35
	v_addc_co_u32_e32 v132, vcc, 0, v36, vcc
	global_load_dword v133, v[131:132], off offset:2
	global_load_dword v137, v[131:132], off offset:20
	v_add_co_u32_e32 v131, vcc, s29, v37
	v_addc_co_u32_e32 v132, vcc, 0, v38, vcc
	global_load_ushort v135, v[131:132], off
	global_load_ushort v134, v[131:132], off offset:18
	s_and_b64 vcc, exec, s[18:19]
	s_waitcnt vmcnt(3)
	v_and_b32_e32 v136, 0xf0f0f0f, v133
	v_lshrrev_b32_e32 v131, 4, v133
	s_waitcnt vmcnt(2)
	v_and_b32_e32 v133, 0xf0f0f0f, v137
	v_lshrrev_b32_e32 v132, 4, v137
	v_and_b32_e32 v137, 0xf0f0f0f, v131
	v_dot4_i32_i8 v131, v136, v10, 0
	v_dot4_i32_i8 v139, v137, v11, 0
	v_cvt_f32_i32_e32 v131, v131
	v_and_b32_e32 v132, 0xf0f0f0f, v132
	v_dot4_i32_i8 v138, v133, v12, 0
	v_cvt_f32_i32_e32 v139, v139
	v_dot4_i32_i8 v140, v132, v13, 0
	v_cvt_f32_i32_e32 v138, v138
	v_cvt_f32_i32_e32 v140, v140
	v_fma_f32 v131, v2, v131, -v3
	v_fma_f32 v139, v2, v139, -v3
	s_waitcnt vmcnt(1)
	v_fma_mix_f32 v131, v131, v135, 0 op_sel_hi:[0,1,0]
	v_fma_mix_f32 v131, v139, v135, v131 op_sel_hi:[0,1,0]
	v_fma_f32 v138, v4, v138, -v5
	v_fma_f32 v140, v4, v140, -v5
	s_waitcnt vmcnt(0)
	v_fma_mix_f32 v131, v138, v134, v131 op_sel_hi:[0,1,0]
	v_fma_mix_f32 v131, v140, v134, v131 op_sel_hi:[0,1,0]
	ds_bpermute_b32 v138, v109, v131
	s_waitcnt lgkmcnt(0)
	v_add_f32_e32 v131, v131, v138
	ds_bpermute_b32 v138, v110, v131
	s_waitcnt lgkmcnt(0)
	v_add_f32_e32 v131, v131, v138
	s_cbranch_vccnz .LBB9_37
; %bb.36:                               ;   in Loop: Header=BB9_27 Depth=1
	v_mov_b32_e32 v139, s47
	v_add_co_u32_e32 v138, vcc, s6, v116
	v_addc_co_u32_e32 v139, vcc, v117, v139, vcc
	global_load_ushort v138, v[138:139], off offset:4
	s_waitcnt vmcnt(0)
	v_fma_mix_f32 v131, v23, v138, v131 op_sel_hi:[0,1,0]
.LBB9_37:                               ;   in Loop: Header=BB9_27 Depth=1
	v_dot4_i32_i8 v136, v136, v14, 0
	v_cvt_f32_i32_e32 v136, v136
	v_dot4_i32_i8 v137, v137, v15, 0
	v_cvt_f32_f16_e32 v135, v135
	v_cvt_f32_i32_e32 v137, v137
	v_dot4_i32_i8 v133, v133, v16, 0
	v_cvt_f32_i32_e32 v133, v133
	v_dot4_i32_i8 v132, v132, v17, 0
	v_cvt_f32_f16_e32 v134, v134
	v_cvt_f32_i32_e32 v132, v132
	v_fma_f32 v136, v6, v136, -v7
	v_fma_f32 v136, v136, v135, 0
	v_fma_f32 v137, v6, v137, -v7
	v_fmac_f32_e32 v136, v137, v135
	v_fma_f32 v133, v8, v133, -v9
	v_fmac_f32_e32 v136, v133, v134
	;; [unrolled: 2-line block ×3, first 2 shown]
	ds_bpermute_b32 v132, v109, v136
	s_and_b64 vcc, exec, s[16:17]
	s_waitcnt lgkmcnt(0)
	v_add_f32_e32 v132, v136, v132
	ds_bpermute_b32 v133, v110, v132
	s_waitcnt lgkmcnt(0)
	v_add_f32_e32 v132, v132, v133
	s_cbranch_vccnz .LBB9_39
; %bb.38:                               ;   in Loop: Header=BB9_27 Depth=1
	v_mov_b32_e32 v134, s47
	v_add_co_u32_e32 v133, vcc, s6, v29
	v_addc_co_u32_e32 v134, vcc, v30, v134, vcc
	global_load_ushort v133, v[133:134], off offset:4
	s_waitcnt vmcnt(0)
	v_fma_mix_f32 v132, v23, v133, v132 op_sel_hi:[0,1,0]
.LBB9_39:                               ;   in Loop: Header=BB9_27 Depth=1
	v_add_co_u32_e32 v133, vcc, s29, v31
	v_addc_co_u32_e32 v134, vcc, 0, v32, vcc
	global_load_dword v135, v[133:134], off offset:2
	global_load_dword v139, v[133:134], off offset:20
	v_add_co_u32_e32 v133, vcc, s29, v33
	v_addc_co_u32_e32 v134, vcc, 0, v34, vcc
	global_load_ushort v137, v[133:134], off
	global_load_ushort v136, v[133:134], off offset:18
	s_and_b64 vcc, exec, s[18:19]
	s_waitcnt vmcnt(3)
	v_and_b32_e32 v138, 0xf0f0f0f, v135
	v_lshrrev_b32_e32 v133, 4, v135
	s_waitcnt vmcnt(2)
	v_and_b32_e32 v135, 0xf0f0f0f, v139
	v_lshrrev_b32_e32 v134, 4, v139
	v_and_b32_e32 v139, 0xf0f0f0f, v133
	v_dot4_i32_i8 v133, v138, v10, 0
	v_dot4_i32_i8 v141, v139, v11, 0
	v_cvt_f32_i32_e32 v133, v133
	v_and_b32_e32 v134, 0xf0f0f0f, v134
	v_dot4_i32_i8 v140, v135, v12, 0
	v_cvt_f32_i32_e32 v141, v141
	v_dot4_i32_i8 v142, v134, v13, 0
	v_cvt_f32_i32_e32 v140, v140
	v_cvt_f32_i32_e32 v142, v142
	v_fma_f32 v133, v2, v133, -v3
	v_fma_f32 v141, v2, v141, -v3
	s_waitcnt vmcnt(1)
	v_fma_mix_f32 v133, v133, v137, 0 op_sel_hi:[0,1,0]
	v_fma_mix_f32 v133, v141, v137, v133 op_sel_hi:[0,1,0]
	v_fma_f32 v140, v4, v140, -v5
	v_fma_f32 v142, v4, v142, -v5
	s_waitcnt vmcnt(0)
	v_fma_mix_f32 v133, v140, v136, v133 op_sel_hi:[0,1,0]
	v_fma_mix_f32 v133, v142, v136, v133 op_sel_hi:[0,1,0]
	ds_bpermute_b32 v140, v109, v133
	s_waitcnt lgkmcnt(0)
	v_add_f32_e32 v133, v133, v140
	ds_bpermute_b32 v140, v110, v133
	s_waitcnt lgkmcnt(0)
	v_add_f32_e32 v133, v133, v140
	s_cbranch_vccnz .LBB9_41
; %bb.40:                               ;   in Loop: Header=BB9_27 Depth=1
	v_mov_b32_e32 v141, s47
	v_add_co_u32_e32 v140, vcc, s6, v116
	v_addc_co_u32_e32 v141, vcc, v117, v141, vcc
	global_load_ushort v140, v[140:141], off offset:6
	s_waitcnt vmcnt(0)
	v_fma_mix_f32 v133, v23, v140, v133 op_sel_hi:[0,1,0]
.LBB9_41:                               ;   in Loop: Header=BB9_27 Depth=1
	v_dot4_i32_i8 v138, v138, v14, 0
	v_cvt_f32_i32_e32 v138, v138
	v_dot4_i32_i8 v139, v139, v15, 0
	v_cvt_f32_f16_e32 v137, v137
	v_cvt_f32_i32_e32 v139, v139
	v_dot4_i32_i8 v135, v135, v16, 0
	v_cvt_f32_i32_e32 v135, v135
	v_dot4_i32_i8 v134, v134, v17, 0
	v_cvt_f32_f16_e32 v136, v136
	v_cvt_f32_i32_e32 v134, v134
	v_fma_f32 v138, v6, v138, -v7
	v_fma_f32 v138, v138, v137, 0
	v_fma_f32 v139, v6, v139, -v7
	v_fmac_f32_e32 v138, v139, v137
	v_fma_f32 v135, v8, v135, -v9
	v_fmac_f32_e32 v138, v135, v136
	;; [unrolled: 2-line block ×3, first 2 shown]
	ds_bpermute_b32 v134, v109, v138
	s_and_b64 vcc, exec, s[16:17]
	s_waitcnt lgkmcnt(0)
	v_add_f32_e32 v134, v138, v134
	ds_bpermute_b32 v135, v110, v134
	s_waitcnt lgkmcnt(0)
	v_add_f32_e32 v134, v134, v135
	s_cbranch_vccnz .LBB9_43
; %bb.42:                               ;   in Loop: Header=BB9_27 Depth=1
	v_mov_b32_e32 v136, s47
	v_add_co_u32_e32 v135, vcc, s6, v29
	v_addc_co_u32_e32 v136, vcc, v30, v136, vcc
	global_load_ushort v135, v[135:136], off offset:6
	s_waitcnt vmcnt(0)
	v_fma_mix_f32 v134, v23, v135, v134 op_sel_hi:[0,1,0]
.LBB9_43:                               ;   in Loop: Header=BB9_27 Depth=1
	v_add_f32_e32 v135, 0x40051340, v18
	v_add_f32_e32 v136, 0x40051340, v129
	v_max3_f32 v135, v128, v135, v136
	v_add_f32_e32 v136, 0x40051340, v131
	v_add_f32_e32 v137, 0x40051340, v133
	v_max3_f32 v135, v135, v136, v137
	ds_bpermute_b32 v136, v111, v135
	v_cndmask_b32_e64 v18, v121, v18, s[8:9]
	v_cndmask_b32_e64 v121, v122, v19, s[8:9]
	;; [unrolled: 1-line block ×4, first 2 shown]
	s_waitcnt lgkmcnt(0)
	v_max_f32_e32 v122, v136, v136
	v_max_f32_e32 v122, v135, v122
	ds_bpermute_b32 v135, v112, v122
	v_add_f32_e32 v18, 0x40051340, v19
	v_cndmask_b32_e64 v121, v121, v130, s[10:11]
	v_add_f32_e32 v130, 0x40051340, v130
	v_max3_f32 v130, v127, v18, v130
	s_waitcnt lgkmcnt(0)
	v_max_f32_e32 v19, v135, v135
	v_max_f32_e32 v19, v122, v19
	ds_bpermute_b32 v122, v113, v19
	v_cndmask_b32_e64 v121, v121, v132, s[12:13]
	v_add_f32_e32 v131, 0x40051340, v132
	v_add_f32_e32 v132, 0x40051340, v134
	v_max3_f32 v130, v130, v131, v132
	s_waitcnt lgkmcnt(0)
	v_max_f32_e32 v18, v122, v122
	v_max_f32_e32 v18, v19, v18
	v_sub_f32_e32 v19, v128, v18
	v_mul_f32_e32 v122, 0x3fb8aa3b, v19
	v_fma_f32 v128, v19, s40, -v122
	v_rndne_f32_e32 v135, v122
	v_fmac_f32_e32 v128, 0x32a5705f, v19
	v_sub_f32_e32 v122, v122, v135
	v_add_f32_e32 v122, v122, v128
	v_exp_f32_e32 v122, v122
	v_cvt_i32_f32_e32 v128, v135
	v_cndmask_b32_e64 v131, v121, v134, s[14:15]
	v_cndmask_b32_e64 v121, v129, v133, s[14:15]
	v_sub_f32_e32 v133, v121, v18
	v_ldexp_f32 v122, v122, v128
	v_cmp_ngt_f32_e32 vcc, s41, v19
	v_mul_f32_e32 v121, 0x3fb8aa3b, v133
	v_cndmask_b32_e32 v132, 0, v122, vcc
	v_fma_f32 v122, v133, s40, -v121
	v_rndne_f32_e32 v128, v121
	v_fmac_f32_e32 v122, 0x32a5705f, v133
	v_sub_f32_e32 v121, v121, v128
	v_add_f32_e32 v121, v121, v122
	v_exp_f32_e32 v134, v121
	v_add_co_u32_e32 v121, vcc, s27, v107
	v_addc_co_u32_e32 v122, vcc, 0, v108, vcc
	v_cvt_i32_f32_e32 v135, v128
	v_add_co_u32_e32 v128, vcc, s27, v105
	v_addc_co_u32_e32 v129, vcc, 0, v106, vcc
	global_load_ushort v136, v[121:122], off
	s_nop 0
	global_load_dword v129, v[128:129], off offset:2
	ds_bpermute_b32 v121, v111, v130
	v_cmp_nlt_f32_e32 vcc, s42, v19
	v_cndmask_b32_e32 v19, v120, v132, vcc
	v_ldexp_f32 v122, v134, v135
	v_cmp_ngt_f32_e32 vcc, s41, v133
	s_waitcnt lgkmcnt(0)
	v_max_f32_e32 v121, v121, v121
	v_max_f32_e32 v128, v130, v121
	ds_bpermute_b32 v130, v112, v128
	v_cndmask_b32_e32 v122, 0, v122, vcc
	v_cmp_nlt_f32_e32 vcc, s42, v133
	v_cndmask_b32_e32 v121, v120, v122, vcc
	v_fma_f32 v25, v25, v19, v121
	s_waitcnt lgkmcnt(0)
	v_max_f32_e32 v130, v130, v130
	v_max_f32_e32 v128, v128, v130
	v_cvt_f16_f32_e32 v19, v19
	ds_bpermute_b32 v130, v113, v128
	v_cvt_f16_f32_e32 v122, v121
	s_add_i32 s26, s26, s28
	v_mul_u32_u24_e32 v19, 0x10001, v19
	v_pk_mul_f16 v132, v125, v19
	v_pk_mul_f16 v133, v126, v19
	s_waitcnt lgkmcnt(0)
	v_max_f32_e32 v19, v130, v130
	v_max_f32_e32 v19, v128, v19
	v_sub_f32_e32 v125, v127, v19
	ds_write_b16 v22, v122
	v_mul_f32_e32 v122, 0x3fb8aa3b, v125
	v_fma_f32 v126, v125, s40, -v122
	v_rndne_f32_e32 v127, v122
	v_fmac_f32_e32 v126, 0x32a5705f, v125
	v_sub_f32_e32 v122, v122, v127
	v_add_f32_e32 v122, v122, v126
	v_cvt_i32_f32_e32 v126, v127
	v_sub_f32_e32 v127, v131, v19
	v_mul_f32_e32 v128, 0x3fb8aa3b, v127
	v_fma_f32 v130, v127, s40, -v128
	v_rndne_f32_e32 v131, v128
	v_fmac_f32_e32 v130, 0x32a5705f, v127
	v_sub_f32_e32 v128, v128, v131
	v_exp_f32_e32 v122, v122
	v_add_f32_e32 v128, v128, v130
	v_exp_f32_e32 v128, v128
	v_cvt_i32_f32_e32 v130, v131
	v_ldexp_f32 v122, v122, v126
	v_cmp_ngt_f32_e32 vcc, s41, v125
	v_cndmask_b32_e32 v126, 0, v122, vcc
	v_ldexp_f32 v122, v128, v130
	v_cmp_ngt_f32_e32 vcc, s41, v127
	v_cndmask_b32_e32 v122, 0, v122, vcc
	v_cmp_nlt_f32_e32 vcc, s42, v127
	v_cndmask_b32_e32 v122, v120, v122, vcc
	v_cvt_f16_f32_e32 v127, v122
	v_cmp_nlt_f32_e32 vcc, s42, v125
	v_cndmask_b32_e32 v125, v120, v126, vcc
	v_fma_f32 v26, v26, v125, v122
	v_cvt_f16_f32_e32 v130, v125
	v_add_co_u32_e32 v125, vcc, s27, v103
	v_addc_co_u32_e32 v126, vcc, 0, v104, vcc
	ds_write_b16 v22, v127 offset:256
	v_add_co_u32_e32 v127, vcc, s27, v101
	v_addc_co_u32_e32 v128, vcc, 0, v102, vcc
	global_load_ushort v131, v[125:126], off
	global_load_dword v134, v[127:128], off offset:2
	v_mul_u32_u24_e32 v125, 0x10001, v130
	v_pk_mul_f16 v130, v123, v125
	v_pk_mul_f16 v135, v124, v125
	ds_read_u16 v125, v114
	ds_read_u16 v137, v114 offset:16
	ds_read_u16 v124, v114 offset:32
	;; [unrolled: 1-line block ×7, first 2 shown]
	s_waitcnt lgkmcnt(7)
	v_mul_u32_u24_e32 v141, 0x10001, v125
	s_waitcnt lgkmcnt(3)
	v_mul_u32_u24_e32 v142, 0x10001, v126
	v_mul_u32_u24_e32 v137, 0x10001, v137
	s_waitcnt lgkmcnt(2)
	v_mul_u32_u24_e32 v138, 0x10001, v138
	v_mul_u32_u24_e32 v124, 0x10001, v124
	;; [unrolled: 1-line block ×3, first 2 shown]
	s_cmp_ge_i32 s26, s25
	s_waitcnt vmcnt(3)
	v_mul_u32_u24_e32 v136, 0x10001, v136
	s_waitcnt vmcnt(2)
	v_pk_lshrrev_b16 v125, 8, v129 op_sel:[1,0] op_sel_hi:[0,0]
	v_lshrrev_b32_e32 v126, 16, v125
	v_cvt_f16_i16_sdwa v125, sext(v125) dst_sel:DWORD dst_unused:UNUSED_PAD src0_sel:BYTE_0
	v_cvt_f16_i16_sdwa v126, sext(v126) dst_sel:DWORD dst_unused:UNUSED_PAD src0_sel:BYTE_0
	v_pack_b32_f16 v143, v125, v126
	v_add_co_u32_e32 v125, vcc, s27, v99
	v_addc_co_u32_e32 v126, vcc, 0, v100, vcc
	v_add_co_u32_e32 v127, vcc, s27, v97
	v_addc_co_u32_e32 v128, vcc, 0, v98, vcc
	global_load_ushort v144, v[125:126], off
	global_load_dword v145, v[127:128], off offset:2
	v_pk_lshrrev_b16 v126, 8, v129 op_sel:[1,1] op_sel_hi:[0,1]
	v_lshrrev_b32_e32 v127, 16, v126
	v_pk_mul_f16 v125, v143, v136
	v_cvt_f16_i16_sdwa v126, sext(v126) dst_sel:DWORD dst_unused:UNUSED_PAD src0_sel:BYTE_0
	v_cvt_f16_i16_sdwa v127, sext(v127) dst_sel:DWORD dst_unused:UNUSED_PAD src0_sel:BYTE_0
	v_pack_b32_f16 v126, v126, v127
	v_pk_fma_f16 v132, v125, v141, v132
	v_pk_fma_f16 v130, v125, v142, v130
	v_add_co_u32_e32 v125, vcc, s27, v95
	v_pk_mul_f16 v129, v126, v136
	v_addc_co_u32_e32 v126, vcc, 0, v96, vcc
	v_add_co_u32_e32 v127, vcc, s27, v93
	v_addc_co_u32_e32 v128, vcc, 0, v94, vcc
	global_load_ushort v136, v[125:126], off
	global_load_dword v143, v[127:128], off offset:2
	v_pk_fma_f16 v133, v129, v141, v133
	v_pk_fma_f16 v129, v129, v142, v135
	ds_read_u16 v125, v115 offset:4
	ds_read_u16 v135, v115 offset:8
	ds_read_u16 v141, v115 offset:12
	ds_read_u16 v142, v115 offset:20
	ds_read_u16 v146, v115 offset:24
	ds_read_u16 v147, v115 offset:28
	ds_read_u16 v148, v115 offset:36
	ds_read_u16 v149, v115 offset:40
	s_waitcnt lgkmcnt(7)
	v_mul_u32_u24_e32 v150, 0x10001, v125
	v_add_co_u32_e32 v125, vcc, s27, v91
	v_addc_co_u32_e32 v126, vcc, 0, v92, vcc
	v_add_co_u32_e32 v127, vcc, s27, v89
	v_addc_co_u32_e32 v128, vcc, 0, v90, vcc
	global_load_ushort v151, v[125:126], off
	global_load_dword v152, v[127:128], off offset:2
	ds_read_u16 v153, v115 offset:44
	ds_read_u16 v154, v115 offset:52
	;; [unrolled: 1-line block ×8, first 2 shown]
	s_waitcnt lgkmcnt(4)
	v_mul_u32_u24_e32 v125, 0x10001, v125
	s_waitcnt vmcnt(7)
	v_mul_u32_u24_e32 v126, 0x10001, v131
	s_waitcnt vmcnt(6)
	v_pk_lshrrev_b16 v127, 8, v134 op_sel:[1,0] op_sel_hi:[0,0]
	v_lshrrev_b32_e32 v128, 16, v127
	v_cvt_f16_i16_sdwa v127, sext(v127) dst_sel:DWORD dst_unused:UNUSED_PAD src0_sel:BYTE_0
	v_cvt_f16_i16_sdwa v128, sext(v128) dst_sel:DWORD dst_unused:UNUSED_PAD src0_sel:BYTE_0
	v_pack_b32_f16 v127, v127, v128
	v_pk_lshrrev_b16 v128, 8, v134 op_sel:[1,1] op_sel_hi:[0,1]
	v_lshrrev_b32_e32 v131, 16, v128
	v_cvt_f16_i16_sdwa v128, sext(v128) dst_sel:DWORD dst_unused:UNUSED_PAD src0_sel:BYTE_0
	v_cvt_f16_i16_sdwa v131, sext(v131) dst_sel:DWORD dst_unused:UNUSED_PAD src0_sel:BYTE_0
	v_pack_b32_f16 v128, v128, v131
	v_pk_mul_f16 v127, v127, v126
	v_pk_mul_f16 v126, v128, v126
	v_pk_fma_f16 v130, v127, v125, v130
	v_pk_fma_f16 v129, v126, v125, v129
	v_add_co_u32_e32 v125, vcc, s27, v87
	v_pk_fma_f16 v131, v127, v150, v132
	v_pk_fma_f16 v132, v126, v150, v133
	v_addc_co_u32_e32 v126, vcc, 0, v88, vcc
	v_add_co_u32_e32 v127, vcc, s27, v85
	v_mul_u32_u24_e32 v133, 0x10001, v135
	v_addc_co_u32_e32 v128, vcc, 0, v86, vcc
	global_load_ushort v134, v[125:126], off
	global_load_dword v135, v[127:128], off offset:2
	s_waitcnt lgkmcnt(2)
	v_mul_u32_u24_e32 v125, 0x10001, v157
	s_waitcnt vmcnt(7)
	v_mul_u32_u24_e32 v126, 0x10001, v144
	s_waitcnt vmcnt(6)
	v_pk_lshrrev_b16 v127, 8, v145 op_sel:[1,0] op_sel_hi:[0,0]
	v_lshrrev_b32_e32 v128, 16, v127
	v_cvt_f16_i16_sdwa v127, sext(v127) dst_sel:DWORD dst_unused:UNUSED_PAD src0_sel:BYTE_0
	v_cvt_f16_i16_sdwa v128, sext(v128) dst_sel:DWORD dst_unused:UNUSED_PAD src0_sel:BYTE_0
	v_pack_b32_f16 v127, v127, v128
	v_pk_lshrrev_b16 v128, 8, v145 op_sel:[1,1] op_sel_hi:[0,1]
	v_lshrrev_b32_e32 v144, 16, v128
	v_cvt_f16_i16_sdwa v128, sext(v128) dst_sel:DWORD dst_unused:UNUSED_PAD src0_sel:BYTE_0
	v_cvt_f16_i16_sdwa v144, sext(v144) dst_sel:DWORD dst_unused:UNUSED_PAD src0_sel:BYTE_0
	v_pack_b32_f16 v128, v128, v144
	v_pk_mul_f16 v127, v127, v126
	v_pk_mul_f16 v126, v128, v126
	v_pk_fma_f16 v128, v127, v133, v131
	v_pk_fma_f16 v127, v127, v125, v130
	;; [unrolled: 1-line block ×4, first 2 shown]
	v_mul_u32_u24_e32 v126, 0x10001, v141
	s_waitcnt vmcnt(5)
	v_mul_u32_u24_e32 v131, 0x10001, v136
	s_waitcnt vmcnt(4)
	v_pk_lshrrev_b16 v132, 8, v143 op_sel:[1,0] op_sel_hi:[0,0]
	v_lshrrev_b32_e32 v133, 16, v132
	v_cvt_f16_i16_sdwa v132, sext(v132) dst_sel:DWORD dst_unused:UNUSED_PAD src0_sel:BYTE_0
	v_cvt_f16_i16_sdwa v133, sext(v133) dst_sel:DWORD dst_unused:UNUSED_PAD src0_sel:BYTE_0
	v_pack_b32_f16 v132, v132, v133
	v_pk_lshrrev_b16 v133, 8, v143 op_sel:[1,1] op_sel_hi:[0,1]
	v_lshrrev_b32_e32 v136, 16, v133
	v_cvt_f16_i16_sdwa v133, sext(v133) dst_sel:DWORD dst_unused:UNUSED_PAD src0_sel:BYTE_0
	v_cvt_f16_i16_sdwa v136, sext(v136) dst_sel:DWORD dst_unused:UNUSED_PAD src0_sel:BYTE_0
	v_pack_b32_f16 v133, v133, v136
	s_waitcnt lgkmcnt(1)
	v_mul_u32_u24_e32 v129, 0x10001, v158
	v_pk_mul_f16 v132, v132, v131
	v_pk_mul_f16 v131, v133, v131
	v_pk_fma_f16 v133, v132, v126, v128
	v_pk_fma_f16 v132, v132, v129, v127
	;; [unrolled: 1-line block ×3, first 2 shown]
	v_add_co_u32_e32 v125, vcc, s27, v83
	v_pk_fma_f16 v130, v131, v126, v130
	v_addc_co_u32_e32 v126, vcc, 0, v84, vcc
	v_add_co_u32_e32 v127, vcc, s27, v81
	v_addc_co_u32_e32 v128, vcc, 0, v82, vcc
	global_load_ushort v131, v[125:126], off
	global_load_dword v136, v[127:128], off offset:2
	s_waitcnt vmcnt(4)
	v_pk_lshrrev_b16 v125, 8, v152 op_sel:[1,0] op_sel_hi:[0,0]
	v_lshrrev_b32_e32 v126, 16, v125
	v_cvt_f16_i16_sdwa v125, sext(v125) dst_sel:DWORD dst_unused:UNUSED_PAD src0_sel:BYTE_0
	v_cvt_f16_i16_sdwa v126, sext(v126) dst_sel:DWORD dst_unused:UNUSED_PAD src0_sel:BYTE_0
	v_mul_u32_u24_e32 v141, 0x10001, v151
	v_pack_b32_f16 v125, v125, v126
	v_pk_mul_f16 v143, v125, v141
	v_add_co_u32_e32 v125, vcc, s27, v79
	v_addc_co_u32_e32 v126, vcc, 0, v80, vcc
	v_add_co_u32_e32 v127, vcc, s27, v77
	v_addc_co_u32_e32 v128, vcc, 0, v78, vcc
	global_load_ushort v144, v[125:126], off
	global_load_dword v145, v[127:128], off offset:2
	v_pk_lshrrev_b16 v125, 8, v152 op_sel:[1,1] op_sel_hi:[0,1]
	v_lshrrev_b32_e32 v126, 16, v125
	v_cvt_f16_i16_sdwa v125, sext(v125) dst_sel:DWORD dst_unused:UNUSED_PAD src0_sel:BYTE_0
	v_cvt_f16_i16_sdwa v126, sext(v126) dst_sel:DWORD dst_unused:UNUSED_PAD src0_sel:BYTE_0
	v_pack_b32_f16 v125, v125, v126
	v_pk_mul_f16 v125, v125, v141
	v_pk_fma_f16 v130, v125, v137, v130
	v_pk_fma_f16 v129, v125, v138, v129
	;; [unrolled: 1-line block ×4, first 2 shown]
	v_mul_u32_u24_e32 v137, 0x10001, v142
	s_waitcnt lgkmcnt(0)
	v_mul_u32_u24_e32 v138, 0x10001, v159
	s_waitcnt vmcnt(5)
	v_mul_u32_u24_e32 v134, 0x10001, v134
	s_waitcnt vmcnt(4)
	v_pk_lshrrev_b16 v125, 8, v135 op_sel:[1,0] op_sel_hi:[0,0]
	v_lshrrev_b32_e32 v126, 16, v125
	v_cvt_f16_i16_sdwa v125, sext(v125) dst_sel:DWORD dst_unused:UNUSED_PAD src0_sel:BYTE_0
	v_cvt_f16_i16_sdwa v126, sext(v126) dst_sel:DWORD dst_unused:UNUSED_PAD src0_sel:BYTE_0
	v_pack_b32_f16 v125, v125, v126
	v_pk_mul_f16 v141, v125, v134
	v_add_co_u32_e32 v125, vcc, s27, v75
	v_addc_co_u32_e32 v126, vcc, 0, v76, vcc
	v_add_co_u32_e32 v127, vcc, s27, v73
	v_addc_co_u32_e32 v128, vcc, 0, v74, vcc
	global_load_ushort v142, v[125:126], off
	global_load_dword v143, v[127:128], off offset:2
	v_pk_lshrrev_b16 v125, 8, v135 op_sel:[1,1] op_sel_hi:[0,1]
	v_lshrrev_b32_e32 v126, 16, v125
	v_cvt_f16_i16_sdwa v125, sext(v125) dst_sel:DWORD dst_unused:UNUSED_PAD src0_sel:BYTE_0
	v_cvt_f16_i16_sdwa v126, sext(v126) dst_sel:DWORD dst_unused:UNUSED_PAD src0_sel:BYTE_0
	v_pack_b32_f16 v125, v125, v126
	v_pk_mul_f16 v125, v125, v134
	v_pk_fma_f16 v130, v125, v137, v130
	v_pk_fma_f16 v129, v125, v138, v129
	v_add_co_u32_e32 v125, vcc, s27, v71
	v_addc_co_u32_e32 v126, vcc, 0, v72, vcc
	v_add_co_u32_e32 v127, vcc, s27, v69
	v_addc_co_u32_e32 v128, vcc, 0, v70, vcc
	v_pk_fma_f16 v133, v141, v137, v133
	global_load_ushort v135, v[125:126], off
	global_load_dword v137, v[127:128], off offset:2
	v_pk_fma_f16 v132, v141, v138, v132
	v_mul_u32_u24_e32 v134, 0x10001, v146
	ds_read_u16 v125, v115 offset:280
	ds_read_u16 v126, v115 offset:284
	;; [unrolled: 1-line block ×8, first 2 shown]
	s_waitcnt lgkmcnt(7)
	v_mul_u32_u24_e32 v125, 0x10001, v125
	s_waitcnt vmcnt(7)
	v_mul_u32_u24_e32 v127, 0x10001, v131
	s_waitcnt vmcnt(6)
	v_pk_lshrrev_b16 v128, 8, v136 op_sel:[1,0] op_sel_hi:[0,0]
	v_lshrrev_b32_e32 v131, 16, v128
	v_cvt_f16_i16_sdwa v128, sext(v128) dst_sel:DWORD dst_unused:UNUSED_PAD src0_sel:BYTE_0
	v_cvt_f16_i16_sdwa v131, sext(v131) dst_sel:DWORD dst_unused:UNUSED_PAD src0_sel:BYTE_0
	v_pack_b32_f16 v128, v128, v131
	v_pk_lshrrev_b16 v131, 8, v136 op_sel:[1,1] op_sel_hi:[0,1]
	v_lshrrev_b32_e32 v136, 16, v131
	v_cvt_f16_i16_sdwa v131, sext(v131) dst_sel:DWORD dst_unused:UNUSED_PAD src0_sel:BYTE_0
	v_cvt_f16_i16_sdwa v136, sext(v136) dst_sel:DWORD dst_unused:UNUSED_PAD src0_sel:BYTE_0
	v_pack_b32_f16 v131, v131, v136
	v_pk_mul_f16 v128, v128, v127
	v_pk_mul_f16 v127, v131, v127
	v_pk_fma_f16 v132, v128, v125, v132
	v_pk_fma_f16 v129, v127, v125, v129
	;; [unrolled: 1-line block ×4, first 2 shown]
	s_waitcnt vmcnt(4)
	v_pk_lshrrev_b16 v125, 8, v145 op_sel:[1,0] op_sel_hi:[0,0]
	s_waitcnt lgkmcnt(6)
	v_mul_u32_u24_e32 v134, 0x10001, v126
	v_lshrrev_b32_e32 v126, 16, v125
	v_cvt_f16_i16_sdwa v125, sext(v125) dst_sel:DWORD dst_unused:UNUSED_PAD src0_sel:BYTE_0
	v_cvt_f16_i16_sdwa v126, sext(v126) dst_sel:DWORD dst_unused:UNUSED_PAD src0_sel:BYTE_0
	v_mul_u32_u24_e32 v136, 0x10001, v144
	v_pack_b32_f16 v125, v125, v126
	v_pk_mul_f16 v144, v125, v136
	v_add_co_u32_e32 v125, vcc, s27, v67
	v_addc_co_u32_e32 v126, vcc, 0, v68, vcc
	v_add_co_u32_e32 v127, vcc, s27, v65
	v_addc_co_u32_e32 v128, vcc, 0, v66, vcc
	global_load_ushort v157, v[125:126], off
	s_nop 0
	global_load_dword v128, v[127:128], off offset:2
	v_pk_lshrrev_b16 v145, 8, v145 op_sel:[1,1] op_sel_hi:[0,1]
	v_mul_u32_u24_e32 v133, 0x10001, v147
	v_lshrrev_b32_e32 v147, 16, v145
	v_cvt_f16_i16_sdwa v125, sext(v145) dst_sel:DWORD dst_unused:UNUSED_PAD src0_sel:BYTE_0
	v_cvt_f16_i16_sdwa v126, sext(v147) dst_sel:DWORD dst_unused:UNUSED_PAD src0_sel:BYTE_0
	v_pack_b32_f16 v125, v125, v126
	v_pk_mul_f16 v125, v125, v136
	v_pk_fma_f16 v127, v144, v134, v132
	v_pk_fma_f16 v126, v144, v133, v131
	;; [unrolled: 1-line block ×4, first 2 shown]
	v_mul_u32_u24_e32 v129, 0x10001, v139
	s_waitcnt vmcnt(5)
	v_mul_u32_u24_e32 v131, 0x10001, v142
	s_waitcnt vmcnt(4)
	v_pk_lshrrev_b16 v132, 8, v143 op_sel:[1,0] op_sel_hi:[0,0]
	v_lshrrev_b32_e32 v133, 16, v132
	v_cvt_f16_i16_sdwa v132, sext(v132) dst_sel:DWORD dst_unused:UNUSED_PAD src0_sel:BYTE_0
	v_cvt_f16_i16_sdwa v133, sext(v133) dst_sel:DWORD dst_unused:UNUSED_PAD src0_sel:BYTE_0
	v_pack_b32_f16 v132, v132, v133
	v_pk_lshrrev_b16 v133, 8, v143 op_sel:[1,1] op_sel_hi:[0,1]
	v_lshrrev_b32_e32 v134, 16, v133
	v_cvt_f16_i16_sdwa v133, sext(v133) dst_sel:DWORD dst_unused:UNUSED_PAD src0_sel:BYTE_0
	v_cvt_f16_i16_sdwa v134, sext(v134) dst_sel:DWORD dst_unused:UNUSED_PAD src0_sel:BYTE_0
	v_pack_b32_f16 v133, v133, v134
	v_pk_mul_f16 v132, v132, v131
	v_pk_mul_f16 v131, v133, v131
	v_pk_fma_f16 v133, v132, v124, v126
	v_pk_fma_f16 v130, v131, v124, v130
	v_add_co_u32_e32 v124, vcc, s27, v63
	v_pk_fma_f16 v132, v132, v129, v127
	v_pk_fma_f16 v129, v131, v129, v125
	v_addc_co_u32_e32 v125, vcc, 0, v64, vcc
	v_add_co_u32_e32 v126, vcc, s27, v61
	s_waitcnt lgkmcnt(5)
	v_mul_u32_u24_e32 v134, 0x10001, v138
	v_addc_co_u32_e32 v127, vcc, 0, v62, vcc
	global_load_ushort v136, v[124:125], off
	global_load_dword v138, v[126:127], off offset:2
	s_waitcnt vmcnt(4)
	v_pk_lshrrev_b16 v124, 8, v137 op_sel:[1,0] op_sel_hi:[0,0]
	v_lshrrev_b32_e32 v125, 16, v124
	v_cvt_f16_i16_sdwa v124, sext(v124) dst_sel:DWORD dst_unused:UNUSED_PAD src0_sel:BYTE_0
	v_cvt_f16_i16_sdwa v125, sext(v125) dst_sel:DWORD dst_unused:UNUSED_PAD src0_sel:BYTE_0
	v_mul_u32_u24_e32 v135, 0x10001, v135
	v_pack_b32_f16 v124, v124, v125
	v_pk_mul_f16 v139, v124, v135
	v_add_co_u32_e32 v124, vcc, s27, v59
	v_pk_lshrrev_b16 v137, 8, v137 op_sel:[1,1] op_sel_hi:[0,1]
	v_addc_co_u32_e32 v125, vcc, 0, v60, vcc
	v_lshrrev_b32_e32 v142, 16, v137
	v_add_co_u32_e32 v126, vcc, s27, v57
	v_addc_co_u32_e32 v127, vcc, 0, v58, vcc
	global_load_ushort v143, v[124:125], off
	global_load_dword v144, v[126:127], off offset:2
	v_cvt_f16_i16_sdwa v124, sext(v137) dst_sel:DWORD dst_unused:UNUSED_PAD src0_sel:BYTE_0
	v_cvt_f16_i16_sdwa v125, sext(v142) dst_sel:DWORD dst_unused:UNUSED_PAD src0_sel:BYTE_0
	v_pack_b32_f16 v124, v124, v125
	v_mul_u32_u24_e32 v131, 0x10001, v148
	v_pk_mul_f16 v124, v124, v135
	v_pk_fma_f16 v130, v124, v131, v130
	v_pk_fma_f16 v129, v124, v134, v129
	v_add_co_u32_e32 v124, vcc, s27, v55
	v_addc_co_u32_e32 v125, vcc, 0, v56, vcc
	v_add_co_u32_e32 v126, vcc, s27, v53
	v_pk_fma_f16 v132, v139, v134, v132
	v_addc_co_u32_e32 v127, vcc, 0, v54, vcc
	global_load_ushort v134, v[124:125], off
	global_load_dword v135, v[126:127], off offset:2
	v_pk_fma_f16 v133, v139, v131, v133
	s_waitcnt lgkmcnt(4)
	v_mul_u32_u24_e32 v137, 0x10001, v141
	s_waitcnt vmcnt(7)
	v_mul_u32_u24_e32 v139, 0x10001, v157
	s_waitcnt vmcnt(6)
	v_pk_lshrrev_b16 v124, 8, v128 op_sel:[1,0] op_sel_hi:[0,0]
	v_lshrrev_b32_e32 v125, 16, v124
	v_cvt_f16_i16_sdwa v124, sext(v124) dst_sel:DWORD dst_unused:UNUSED_PAD src0_sel:BYTE_0
	v_cvt_f16_i16_sdwa v125, sext(v125) dst_sel:DWORD dst_unused:UNUSED_PAD src0_sel:BYTE_0
	v_pack_b32_f16 v124, v124, v125
	v_pk_mul_f16 v141, v124, v139
	v_add_co_u32_e32 v124, vcc, s27, v51
	v_addc_co_u32_e32 v125, vcc, 0, v52, vcc
	v_add_co_u32_e32 v126, vcc, s27, v49
	v_pk_lshrrev_b16 v128, 8, v128 op_sel:[1,1] op_sel_hi:[0,1]
	v_addc_co_u32_e32 v127, vcc, 0, v50, vcc
	global_load_ushort v142, v[124:125], off
	global_load_dword v145, v[126:127], off offset:2
	v_lshrrev_b32_e32 v124, 16, v128
	v_cvt_f16_i16_sdwa v125, sext(v128) dst_sel:DWORD dst_unused:UNUSED_PAD src0_sel:BYTE_0
	v_cvt_f16_i16_sdwa v124, sext(v124) dst_sel:DWORD dst_unused:UNUSED_PAD src0_sel:BYTE_0
	v_pack_b32_f16 v124, v125, v124
	v_mul_u32_u24_e32 v131, 0x10001, v149
	v_pk_mul_f16 v124, v124, v139
	v_pk_fma_f16 v130, v124, v131, v130
	v_pk_fma_f16 v129, v124, v137, v129
	v_add_co_u32_e32 v124, vcc, s27, v47
	v_addc_co_u32_e32 v125, vcc, 0, v48, vcc
	v_add_co_u32_e32 v126, vcc, s27, v45
	v_addc_co_u32_e32 v127, vcc, 0, v46, vcc
	global_load_ushort v124, v[124:125], off
	s_nop 0
	global_load_dword v125, v[126:127], off offset:2
	v_pk_fma_f16 v128, v141, v131, v133
	v_pk_fma_f16 v132, v141, v137, v132
	v_mul_u32_u24_e32 v126, 0x10001, v153
	s_waitcnt lgkmcnt(3)
	v_mul_u32_u24_e32 v127, 0x10001, v146
	v_add_co_u32_e32 v31, vcc, s38, v31
	v_addc_co_u32_e32 v32, vcc, 0, v32, vcc
	s_waitcnt vmcnt(8)
	v_pk_lshrrev_b16 v133, 8, v138 op_sel:[1,0] op_sel_hi:[0,0]
	v_mul_u32_u24_e32 v131, 0x10001, v136
	v_lshrrev_b32_e32 v136, 16, v133
	v_cvt_f16_i16_sdwa v133, sext(v133) dst_sel:DWORD dst_unused:UNUSED_PAD src0_sel:BYTE_0
	v_cvt_f16_i16_sdwa v136, sext(v136) dst_sel:DWORD dst_unused:UNUSED_PAD src0_sel:BYTE_0
	v_pack_b32_f16 v133, v133, v136
	v_pk_lshrrev_b16 v136, 8, v138 op_sel:[1,1] op_sel_hi:[0,1]
	v_lshrrev_b32_e32 v137, 16, v136
	v_cvt_f16_i16_sdwa v136, sext(v136) dst_sel:DWORD dst_unused:UNUSED_PAD src0_sel:BYTE_0
	v_cvt_f16_i16_sdwa v137, sext(v137) dst_sel:DWORD dst_unused:UNUSED_PAD src0_sel:BYTE_0
	v_pack_b32_f16 v136, v136, v137
	v_pk_mul_f16 v133, v133, v131
	v_pk_mul_f16 v131, v136, v131
	v_pk_fma_f16 v128, v133, v126, v128
	v_pk_fma_f16 v132, v133, v127, v132
	;; [unrolled: 1-line block ×4, first 2 shown]
	s_waitcnt vmcnt(7)
	v_mul_u32_u24_e32 v130, 0x10001, v143
	s_waitcnt vmcnt(6)
	v_pk_lshrrev_b16 v131, 8, v144 op_sel:[1,0] op_sel_hi:[0,0]
	v_lshrrev_b32_e32 v133, 16, v131
	v_cvt_f16_i16_sdwa v131, sext(v131) dst_sel:DWORD dst_unused:UNUSED_PAD src0_sel:BYTE_0
	v_cvt_f16_i16_sdwa v133, sext(v133) dst_sel:DWORD dst_unused:UNUSED_PAD src0_sel:BYTE_0
	v_pack_b32_f16 v131, v131, v133
	v_pk_lshrrev_b16 v133, 8, v144 op_sel:[1,1] op_sel_hi:[0,1]
	v_lshrrev_b32_e32 v136, 16, v133
	v_mul_u32_u24_e32 v129, 0x10001, v140
	v_pk_mul_f16 v131, v131, v130
	v_cvt_f16_i16_sdwa v133, sext(v133) dst_sel:DWORD dst_unused:UNUSED_PAD src0_sel:BYTE_0
	v_cvt_f16_i16_sdwa v136, sext(v136) dst_sel:DWORD dst_unused:UNUSED_PAD src0_sel:BYTE_0
	v_pack_b32_f16 v133, v133, v136
	v_pk_fma_f16 v128, v131, v123, v128
	v_pk_fma_f16 v131, v131, v129, v132
	v_pk_mul_f16 v130, v133, v130
	v_pk_fma_f16 v123, v130, v123, v126
	v_pk_fma_f16 v126, v130, v129, v127
	s_waitcnt vmcnt(4)
	v_pk_lshrrev_b16 v132, 8, v135 op_sel:[1,0] op_sel_hi:[0,0]
	v_lshrrev_b32_e32 v133, 16, v132
	v_cvt_f16_i16_sdwa v132, sext(v132) dst_sel:DWORD dst_unused:UNUSED_PAD src0_sel:BYTE_0
	v_cvt_f16_i16_sdwa v133, sext(v133) dst_sel:DWORD dst_unused:UNUSED_PAD src0_sel:BYTE_0
	v_pack_b32_f16 v132, v132, v133
	v_pk_lshrrev_b16 v133, 8, v135 op_sel:[1,1] op_sel_hi:[0,1]
	v_mul_u32_u24_e32 v130, 0x10001, v134
	v_lshrrev_b32_e32 v134, 16, v133
	v_mul_u32_u24_e32 v127, 0x10001, v154
	s_waitcnt lgkmcnt(2)
	v_mul_u32_u24_e32 v129, 0x10001, v150
	v_pk_mul_f16 v132, v132, v130
	v_cvt_f16_i16_sdwa v133, sext(v133) dst_sel:DWORD dst_unused:UNUSED_PAD src0_sel:BYTE_0
	v_cvt_f16_i16_sdwa v134, sext(v134) dst_sel:DWORD dst_unused:UNUSED_PAD src0_sel:BYTE_0
	v_pack_b32_f16 v133, v133, v134
	v_pk_fma_f16 v128, v132, v127, v128
	v_pk_fma_f16 v131, v132, v129, v131
	v_pk_mul_f16 v130, v133, v130
	v_pk_fma_f16 v123, v130, v127, v123
	v_pk_fma_f16 v126, v130, v129, v126
	s_waitcnt vmcnt(2)
	v_pk_lshrrev_b16 v132, 8, v145 op_sel:[1,0] op_sel_hi:[0,0]
	v_lshrrev_b32_e32 v133, 16, v132
	v_cvt_f16_i16_sdwa v132, sext(v132) dst_sel:DWORD dst_unused:UNUSED_PAD src0_sel:BYTE_0
	v_cvt_f16_i16_sdwa v133, sext(v133) dst_sel:DWORD dst_unused:UNUSED_PAD src0_sel:BYTE_0
	v_pack_b32_f16 v132, v132, v133
	v_pk_lshrrev_b16 v133, 8, v145 op_sel:[1,1] op_sel_hi:[0,1]
	v_lshrrev_b32_e32 v134, 16, v133
	v_cvt_f16_i16_sdwa v133, sext(v133) dst_sel:DWORD dst_unused:UNUSED_PAD src0_sel:BYTE_0
	v_cvt_f16_i16_sdwa v134, sext(v134) dst_sel:DWORD dst_unused:UNUSED_PAD src0_sel:BYTE_0
	v_mul_u32_u24_e32 v130, 0x10001, v142
	v_pack_b32_f16 v133, v133, v134
	v_mul_u32_u24_e32 v127, 0x10001, v155
	v_pk_mul_f16 v132, v132, v130
	v_pk_mul_f16 v130, v133, v130
	s_waitcnt lgkmcnt(1)
	v_mul_u32_u24_e32 v129, 0x10001, v151
	v_pk_fma_f16 v128, v132, v127, v128
	v_pk_fma_f16 v127, v130, v127, v123
	s_waitcnt vmcnt(1)
	v_mul_u32_u24_e32 v123, 0x10001, v124
	s_waitcnt vmcnt(0)
	v_pk_lshrrev_b16 v124, 8, v125 op_sel:[1,0] op_sel_hi:[0,0]
	v_pk_fma_f16 v131, v132, v129, v131
	v_lshrrev_b32_e32 v132, 16, v124
	v_cvt_f16_i16_sdwa v124, sext(v124) dst_sel:DWORD dst_unused:UNUSED_PAD src0_sel:BYTE_0
	v_cvt_f16_i16_sdwa v132, sext(v132) dst_sel:DWORD dst_unused:UNUSED_PAD src0_sel:BYTE_0
	v_pk_lshrrev_b16 v125, 8, v125 op_sel:[1,1] op_sel_hi:[0,1]
	v_pack_b32_f16 v124, v124, v132
	v_lshrrev_b32_e32 v132, 16, v125
	v_add_co_u32_e32 v33, vcc, s38, v33
	v_cvt_f16_i16_sdwa v125, sext(v125) dst_sel:DWORD dst_unused:UNUSED_PAD src0_sel:BYTE_0
	v_cvt_f16_i16_sdwa v132, sext(v132) dst_sel:DWORD dst_unused:UNUSED_PAD src0_sel:BYTE_0
	v_addc_co_u32_e32 v34, vcc, 0, v34, vcc
	v_pack_b32_f16 v125, v125, v132
	v_add_co_u32_e32 v35, vcc, s38, v35
	v_pk_fma_f16 v129, v130, v129, v126
	v_mul_u32_u24_e32 v126, 0x10001, v156
	v_pk_mul_f16 v124, v124, v123
	v_pk_mul_f16 v132, v125, v123
	v_addc_co_u32_e32 v36, vcc, 0, v36, vcc
	v_pk_fma_f16 v125, v124, v126, v128
	v_pk_fma_f16 v126, v132, v126, v127
	v_mov_b32_e32 v127, s37
	v_add_co_u32_e32 v27, vcc, s36, v27
	v_addc_co_u32_e32 v28, vcc, v28, v127, vcc
	v_add_co_u32_e32 v37, vcc, s38, v37
	v_addc_co_u32_e32 v38, vcc, 0, v38, vcc
	;; [unrolled: 2-line block ×39, first 2 shown]
	s_waitcnt lgkmcnt(0)
	v_mul_u32_u24_e32 v130, 0x10001, v152
	v_add_co_u32_e32 v107, vcc, s39, v107
	v_pk_fma_f16 v123, v124, v130, v131
	v_pk_fma_f16 v124, v132, v130, v129
	v_addc_co_u32_e32 v108, vcc, 0, v108, vcc
	s_cbranch_scc1 .LBB9_46
; %bb.44:                               ;   in Loop: Header=BB9_27 Depth=1
	v_mov_b32_e32 v128, v18
	v_mov_b32_e32 v127, v19
	s_branch .LBB9_27
.LBB9_45:
	v_mov_b32_e32 v18, 0xfeffffff
	v_mov_b32_e32 v25, 0
	;; [unrolled: 1-line block ×4, first 2 shown]
	s_branch .LBB9_47
.LBB9_46:
	buffer_store_dword v125, off, s[0:3], 0
	buffer_store_dword v126, off, s[0:3], 0 offset:4
	buffer_store_dword v123, off, s[0:3], 0 offset:8
	;; [unrolled: 1-line block ×3, first 2 shown]
.LBB9_47:
	s_cmp_eq_u64 s[44:45], 0
	s_cselect_b64 s[8:9], -1, 0
	s_cmp_lg_u32 s7, 0
	s_cselect_b64 s[10:11], -1, 0
	s_or_b64 s[8:9], s[10:11], s[8:9]
	s_nor_b64 s[8:9], s[8:9], s[20:21]
	s_and_saveexec_b64 s[12:13], s[8:9]
	s_cbranch_execz .LBB9_49
; %bb.48:
	v_mov_b32_e32 v2, 0
	v_lshl_add_u32 v2, v1, 3, v2
	buffer_load_dword v3, v2, s[0:3], 0 offen
	buffer_load_dword v4, v2, s[0:3], 0 offen offset:4
	s_ashr_i32 s25, s24, 31
	s_lshl_b64 s[8:9], s[24:25], 2
	s_add_u32 s8, s44, s8
	s_addc_u32 s9, s45, s9
	s_load_dword s8, s[8:9], 0x0
	v_cmp_eq_u32_e32 vcc, 1, v1
	v_cndmask_b32_e32 v5, v18, v19, vcc
	v_max_f32_e32 v7, v5, v5
	s_mov_b32 s6, 0x3fb8aa3b
	s_waitcnt lgkmcnt(0)
	v_max_f32_e64 v9, s8, s8
	v_max_f32_e32 v7, v9, v7
	v_sub_f32_e32 v5, v5, v7
	v_sub_f32_e32 v9, s8, v7
	v_mul_f32_e32 v10, 0x3fb8aa3b, v5
	v_mul_f32_e32 v11, 0x3fb8aa3b, v9
	v_fma_f32 v12, v5, s6, -v10
	v_rndne_f32_e32 v13, v10
	v_fma_f32 v14, v9, s6, -v11
	v_rndne_f32_e32 v15, v11
	v_fmac_f32_e32 v12, 0x32a5705f, v5
	v_sub_f32_e32 v10, v10, v13
	v_fmac_f32_e32 v14, 0x32a5705f, v9
	v_sub_f32_e32 v11, v11, v15
	v_add_f32_e32 v10, v10, v12
	v_cvt_i32_f32_e32 v13, v13
	v_add_f32_e32 v11, v11, v14
	v_exp_f32_e32 v10, v10
	v_cvt_i32_f32_e32 v15, v15
	v_exp_f32_e32 v11, v11
	s_mov_b32 s14, 0xc2ce8ed0
	v_cmp_eq_u32_e64 s[8:9], 0, v1
	v_cndmask_b32_e32 v19, v19, v7, vcc
	v_cndmask_b32_e64 v18, v18, v7, s[8:9]
	v_ldexp_f32 v7, v10, v13
	v_cmp_ngt_f32_e64 s[10:11], s14, v5
	s_mov_b32 s15, 0x42b17218
	v_ldexp_f32 v10, v11, v15
	v_cndmask_b32_e64 v7, 0, v7, s[10:11]
	v_cmp_ngt_f32_e64 s[10:11], s14, v9
	v_mov_b32_e32 v6, 0x7f800000
	v_cndmask_b32_e64 v10, 0, v10, s[10:11]
	v_cmp_nlt_f32_e64 s[10:11], s15, v5
	v_cndmask_b32_e64 v5, v6, v7, s[10:11]
	v_cvt_f16_f32_e32 v7, v5
	v_cmp_nlt_f32_e64 s[10:11], s15, v9
	v_cndmask_b32_e64 v6, v6, v10, s[10:11]
	v_cmp_eq_u32_e64 s[10:11], 0, v0
	v_cndmask_b32_e32 v8, v25, v26, vcc
	v_cndmask_b32_e64 v6, 0, v6, s[10:11]
	v_fmac_f32_e32 v6, v8, v5
	v_mul_u32_u24_e32 v5, 0x10001, v7
	v_cndmask_b32_e32 v26, v26, v6, vcc
	v_cndmask_b32_e64 v25, v25, v6, s[8:9]
	s_waitcnt vmcnt(1)
	v_pk_mul_f16 v3, v3, v5
	s_waitcnt vmcnt(0)
	v_pk_mul_f16 v4, v4, v5
	buffer_store_dword v3, v2, s[0:3], 0 offen
	buffer_store_dword v4, v2, s[0:3], 0 offen offset:4
.LBB9_49:
	s_or_b64 exec, exec, s[12:13]
	v_cmp_eq_u32_e32 vcc, 0, v1
	v_add_u32_e32 v4, 0x500, v21
	v_or_b32_e32 v10, 0x400, v21
	s_and_saveexec_b64 s[8:9], vcc
	s_cbranch_execz .LBB9_51
; %bb.50:
	v_mov_b32_e32 v2, 0xfeffffff
	v_mov_b32_e32 v3, 0
	ds_write2_b32 v10, v2, v2 offset1:32
	ds_write2_b32 v4, v3, v3 offset1:32
.LBB9_51:
	s_or_b64 exec, exec, s[8:9]
	v_cmp_eq_u32_e64 s[10:11], 0, v0
	s_waitcnt vmcnt(0) lgkmcnt(0)
	s_barrier
	s_and_saveexec_b64 s[8:9], s[10:11]
; %bb.52:
	v_lshlrev_b32_e32 v2, 2, v1
	v_add_u32_e32 v2, 0x400, v2
	ds_write2_b32 v2, v18, v19 offset1:32
; %bb.53:
	s_or_b64 exec, exec, s[8:9]
	s_cmp_lt_i32 s33, s22
	s_waitcnt lgkmcnt(0)
	s_barrier
	s_cbranch_scc1 .LBB9_55
; %bb.54:
	s_add_u32 s12, s4, 0xd0
	s_addc_u32 s13, s5, 0
	s_mul_i32 s54, s54, s22
	s_cbranch_execz .LBB9_56
	s_branch .LBB9_68
.LBB9_55:
                                        ; implicit-def: $sgpr12_sgpr13
	s_mul_i32 s54, s54, s22
.LBB9_56:
	v_mbcnt_hi_u32_b32 v2, -1, v24
	v_and_b32_e32 v3, 0x60, v2
	ds_read_b32 v7, v10
	v_add_u32_e32 v3, 32, v3
	v_xor_b32_e32 v5, 16, v2
	v_cmp_lt_i32_e32 vcc, v5, v3
	buffer_load_dword v12, off, s[0:3], 0
	buffer_load_dword v13, off, s[0:3], 0 offset:4
	v_cndmask_b32_e32 v5, v2, v5, vcc
	v_lshlrev_b32_e32 v5, 2, v5
	s_waitcnt lgkmcnt(0)
	ds_bpermute_b32 v8, v5, v7
	v_xor_b32_e32 v6, 8, v2
	v_cmp_lt_i32_e32 vcc, v6, v3
	v_cndmask_b32_e32 v6, v2, v6, vcc
	v_max_f32_e32 v7, v7, v7
	s_waitcnt lgkmcnt(0)
	v_max_f32_e32 v8, v8, v8
	v_lshlrev_b32_e32 v6, 2, v6
	v_max_f32_e32 v8, v7, v8
	ds_bpermute_b32 v9, v6, v8
	v_xor_b32_e32 v7, 4, v2
	v_cmp_lt_i32_e32 vcc, v7, v3
	v_cndmask_b32_e32 v7, v2, v7, vcc
	v_lshlrev_b32_e32 v7, 2, v7
	s_waitcnt lgkmcnt(0)
	v_max_f32_e32 v9, v9, v9
	v_max_f32_e32 v9, v8, v9
	ds_bpermute_b32 v11, v7, v9
	v_xor_b32_e32 v8, 2, v2
	v_cmp_lt_i32_e32 vcc, v8, v3
	v_cndmask_b32_e32 v8, v2, v8, vcc
	v_lshlrev_b32_e32 v8, 2, v8
	s_waitcnt lgkmcnt(0)
	v_max_f32_e32 v11, v11, v11
	;; [unrolled: 8-line block ×3, first 2 shown]
	v_max_f32_e32 v2, v11, v2
	ds_bpermute_b32 v3, v9, v2
	s_mov_b32 s6, 0x3fb8aa3b
	v_lshlrev_b32_e32 v17, 3, v0
	s_waitcnt lgkmcnt(0)
	v_max_f32_e32 v3, v3, v3
	v_max_f32_e32 v2, v2, v3
	v_sub_f32_e32 v3, v18, v2
	v_mul_f32_e32 v11, 0x3fb8aa3b, v3
	v_fma_f32 v14, v3, s6, -v11
	v_rndne_f32_e32 v15, v11
	v_fmac_f32_e32 v14, 0x32a5705f, v3
	v_sub_f32_e32 v11, v11, v15
	v_add_f32_e32 v11, v11, v14
	v_exp_f32_e32 v11, v11
	v_cvt_i32_f32_e32 v14, v15
	s_mov_b32 s6, 0xc2ce8ed0
	v_cmp_ngt_f32_e32 vcc, s6, v3
	s_mov_b32 s6, 0x42b17218
	v_ldexp_f32 v11, v11, v14
	v_cndmask_b32_e32 v11, 0, v11, vcc
	v_mov_b32_e32 v14, 0x7f800000
	v_cmp_nlt_f32_e32 vcc, s6, v3
	v_cndmask_b32_e32 v3, v14, v11, vcc
	v_mul_f32_e32 v11, v25, v3
	ds_bpermute_b32 v11, v5, v11
	v_mov_b32_e32 v15, 0x500
	s_movk_i32 s6, 0x78
	s_waitcnt lgkmcnt(0)
	v_fmac_f32_e32 v11, v25, v3
	ds_bpermute_b32 v14, v6, v11
	v_cvt_f16_f32_e32 v3, v3
	s_waitcnt lgkmcnt(0)
	v_add_f32_e32 v14, v11, v14
	ds_bpermute_b32 v16, v7, v14
	v_lshl_add_u32 v11, v1, 2, v15
	v_mul_u32_u24_e32 v3, 0x10001, v3
	s_waitcnt lgkmcnt(0)
	v_add_f32_e32 v14, v14, v16
	ds_bpermute_b32 v15, v8, v14
	v_and_b32_e32 v16, 0x380, v17
	v_lshl_add_u32 v1, v1, 8, v16
	v_and_or_b32 v1, v17, s6, v1
	s_waitcnt vmcnt(1)
	v_pk_mul_f16 v12, v12, v3
	s_waitcnt lgkmcnt(0)
	v_add_f32_e32 v14, v14, v15
	ds_bpermute_b32 v15, v9, v14
	s_waitcnt vmcnt(0)
	v_pk_mul_f16 v13, v13, v3
	buffer_store_dword v12, off, s[0:3], 0
	buffer_store_dword v13, off, s[0:3], 0 offset:4
	ds_write_b64 v1, v[12:13]
	s_waitcnt lgkmcnt(1)
	v_add_f32_e32 v25, v14, v15
	s_and_saveexec_b64 s[8:9], s[10:11]
; %bb.57:
	ds_write_b32 v11, v25
; %bb.58:
	s_or_b64 exec, exec, s[8:9]
	s_add_u32 s12, s4, 0xd0
	v_cmp_gt_u32_e64 s[8:9], 64, v20
	s_addc_u32 s13, s5, 0
	s_add_i32 s6, s33, s54
	s_waitcnt vmcnt(0) lgkmcnt(0)
	s_barrier
	s_and_saveexec_b64 s[4:5], s[8:9]
	s_cbranch_execz .LBB9_60
; %bb.59:
	ds_read_b32 v3, v4
	ds_read_u16 v12, v22
	ds_read_u16 v13, v22 offset:128
	ds_read_u16 v14, v22 offset:256
	;; [unrolled: 1-line block ×6, first 2 shown]
	s_waitcnt lgkmcnt(7)
	ds_bpermute_b32 v21, v5, v3
	s_waitcnt lgkmcnt(7)
	v_cvt_f32_f16_e32 v12, v12
	s_waitcnt lgkmcnt(6)
	v_cvt_f32_f16_e32 v13, v13
	ds_read_u16 v23, v22 offset:896
	s_waitcnt lgkmcnt(6)
	v_cvt_f32_f16_e32 v14, v14
	s_waitcnt lgkmcnt(1)
	v_add_f32_e32 v3, v3, v21
	ds_bpermute_b32 v21, v6, v3
	v_cvt_f32_f16_e32 v15, v15
	v_cvt_f32_f16_e32 v16, v16
	v_add_f32_e32 v12, 0, v12
	v_cvt_f32_f16_e32 v17, v17
	s_waitcnt lgkmcnt(0)
	v_add_f32_e32 v3, v3, v21
	ds_bpermute_b32 v21, v7, v3
	v_add_f32_e32 v12, v12, v13
	v_cvt_f32_f16_e32 v18, v18
	v_add_f32_e32 v12, v12, v14
	v_cvt_f32_f16_e32 v23, v23
	s_waitcnt lgkmcnt(0)
	v_add_f32_e32 v3, v3, v21
	ds_bpermute_b32 v21, v8, v3
	v_add_f32_e32 v12, v12, v15
	v_add_f32_e32 v12, v12, v16
	;; [unrolled: 1-line block ×4, first 2 shown]
	s_waitcnt lgkmcnt(0)
	v_add_f32_e32 v3, v3, v21
	ds_bpermute_b32 v13, v9, v3
	v_add_f32_e32 v14, v12, v23
	s_waitcnt lgkmcnt(0)
	v_add_f32_e32 v25, v3, v13
	v_div_scale_f32 v3, s[14:15], v25, v25, v14
	v_div_scale_f32 v12, vcc, v14, v25, v14
	s_load_dword s14, s[12:13], 0x4
	s_mul_i32 s15, s6, s23
	s_add_i32 s15, s15, s24
	s_waitcnt lgkmcnt(0)
	s_mul_i32 s15, s14, s15
	s_add_i32 s15, s15, s7
	s_cmp_eq_u32 s14, 1
	v_rcp_f32_e32 v13, v3
	v_fma_f32 v15, -v3, v13, 1.0
	v_fmac_f32_e32 v13, v15, v13
	v_mul_f32_e32 v15, v12, v13
	v_fma_f32 v16, -v3, v15, v12
	v_fmac_f32_e32 v15, v16, v13
	v_fma_f32 v3, -v3, v15, v12
	v_div_fmas_f32 v3, v3, v13, v15
	v_mov_b32_e32 v13, 0
	v_lshl_or_b32 v12, s15, 6, v20
	v_lshlrev_b64 v[12:13], 2, v[12:13]
	v_mov_b32_e32 v15, s49
	v_add_co_u32_e32 v12, vcc, s48, v12
	v_addc_co_u32_e32 v13, vcc, v15, v13, vcc
	s_cselect_b64 vcc, -1, 0
	v_div_fixup_f32 v3, v3, v25, v14
	v_cndmask_b32_e32 v3, v14, v3, vcc
	global_store_dword v[12:13], v3, off
.LBB9_60:
	s_or_b64 exec, exec, s[4:5]
	s_or_b32 s4, s33, 1
	s_cmp_ge_i32 s4, s22
	s_waitcnt vmcnt(0)
	s_barrier
	s_cbranch_scc1 .LBB9_66
; %bb.61:
	ds_read_b32 v3, v10 offset:128
	buffer_load_dword v10, off, s[0:3], 0 offset:8
	buffer_load_dword v13, off, s[0:3], 0 offset:12
	s_mov_b32 s4, 0x3fb8aa3b
	s_mov_b32 s5, 0x42b17218
	s_waitcnt lgkmcnt(0)
	ds_bpermute_b32 v12, v5, v3
	v_max_f32_e32 v3, v3, v3
	s_waitcnt lgkmcnt(0)
	v_max_f32_e32 v12, v12, v12
	v_max_f32_e32 v3, v3, v12
	ds_bpermute_b32 v12, v6, v3
	s_waitcnt lgkmcnt(0)
	v_max_f32_e32 v12, v12, v12
	v_max_f32_e32 v3, v3, v12
	ds_bpermute_b32 v12, v7, v3
	;; [unrolled: 4-line block ×4, first 2 shown]
	s_waitcnt lgkmcnt(0)
	v_max_f32_e32 v12, v12, v12
	v_max_f32_e32 v3, v3, v12
	v_sub_f32_e32 v12, v19, v3
	v_mul_f32_e32 v14, 0x3fb8aa3b, v12
	v_fma_f32 v15, v12, s4, -v14
	v_rndne_f32_e32 v16, v14
	v_fmac_f32_e32 v15, 0x32a5705f, v12
	v_sub_f32_e32 v14, v14, v16
	v_add_f32_e32 v14, v14, v15
	v_cvt_i32_f32_e32 v16, v16
	v_exp_f32_e32 v14, v14
	s_mov_b32 s4, 0xc2ce8ed0
	v_cmp_ngt_f32_e32 vcc, s4, v12
	v_mov_b32_e32 v15, 0x7f800000
	v_ldexp_f32 v14, v14, v16
	v_cndmask_b32_e32 v14, 0, v14, vcc
	v_cmp_nlt_f32_e32 vcc, s5, v12
	v_cndmask_b32_e32 v12, v15, v14, vcc
	v_mul_f32_e32 v14, v26, v12
	ds_bpermute_b32 v14, v5, v14
	s_waitcnt lgkmcnt(0)
	v_fmac_f32_e32 v14, v26, v12
	ds_bpermute_b32 v15, v6, v14
	v_cvt_f16_f32_e32 v12, v12
	s_waitcnt lgkmcnt(0)
	v_add_f32_e32 v14, v14, v15
	ds_bpermute_b32 v15, v7, v14
	v_mul_u32_u24_e32 v16, 0x10001, v12
	s_waitcnt lgkmcnt(0)
	v_add_f32_e32 v14, v14, v15
	ds_bpermute_b32 v15, v8, v14
	s_waitcnt lgkmcnt(0)
	v_add_f32_e32 v14, v14, v15
	ds_bpermute_b32 v15, v9, v14
	s_waitcnt vmcnt(1)
	v_pk_mul_f16 v12, v10, v16
	s_waitcnt vmcnt(0)
	v_pk_mul_f16 v13, v13, v16
	buffer_store_dword v12, off, s[0:3], 0 offset:8
	buffer_store_dword v13, off, s[0:3], 0 offset:12
	ds_write_b64 v1, v[12:13]
	s_waitcnt lgkmcnt(1)
	v_add_f32_e32 v26, v14, v15
	s_and_saveexec_b64 s[4:5], s[10:11]
; %bb.62:
	ds_write_b32 v11, v26 offset:128
; %bb.63:
	s_or_b64 exec, exec, s[4:5]
	s_waitcnt vmcnt(0) lgkmcnt(0)
	s_barrier
	s_and_saveexec_b64 s[4:5], s[8:9]
	s_cbranch_execz .LBB9_65
; %bb.64:
	ds_read_b32 v1, v4 offset:128
	ds_read_u16 v4, v22
	ds_read_u16 v10, v22 offset:128
	ds_read_u16 v11, v22 offset:256
	;; [unrolled: 1-line block ×6, first 2 shown]
	s_waitcnt lgkmcnt(7)
	ds_bpermute_b32 v5, v5, v1
	s_waitcnt lgkmcnt(7)
	v_cvt_f32_f16_e32 v4, v4
	ds_read_u16 v16, v22 offset:896
	s_add_i32 s6, s6, 1
	s_mul_i32 s6, s6, s23
	s_waitcnt lgkmcnt(1)
	v_add_f32_e32 v1, v1, v5
	ds_bpermute_b32 v5, v6, v1
	v_cvt_f32_f16_e32 v6, v10
	v_cvt_f32_f16_e32 v10, v11
	;; [unrolled: 1-line block ×3, first 2 shown]
	v_add_f32_e32 v4, 0, v4
	s_waitcnt lgkmcnt(0)
	v_add_f32_e32 v1, v1, v5
	ds_bpermute_b32 v5, v7, v1
	v_cvt_f32_f16_e32 v7, v13
	v_cvt_f32_f16_e32 v12, v14
	v_add_f32_e32 v4, v4, v6
	v_cvt_f32_f16_e32 v13, v15
	s_waitcnt lgkmcnt(0)
	v_add_f32_e32 v1, v1, v5
	ds_bpermute_b32 v5, v8, v1
	v_add_f32_e32 v4, v4, v10
	v_cvt_f32_f16_e32 v14, v16
	v_add_f32_e32 v4, v4, v11
	v_add_f32_e32 v4, v4, v7
	s_waitcnt lgkmcnt(0)
	v_add_f32_e32 v1, v1, v5
	ds_bpermute_b32 v5, v9, v1
	v_add_f32_e32 v4, v4, v12
	v_add_f32_e32 v4, v4, v13
	;; [unrolled: 1-line block ×3, first 2 shown]
	s_add_i32 s6, s6, s24
	s_waitcnt lgkmcnt(0)
	v_add_f32_e32 v26, v1, v5
	v_div_scale_f32 v1, s[8:9], v26, v26, v6
	v_div_scale_f32 v4, vcc, v6, v26, v6
	s_load_dword s8, s[12:13], 0x4
	s_waitcnt lgkmcnt(0)
	s_mul_i32 s6, s8, s6
	s_add_i32 s6, s6, s7
	s_cmp_eq_u32 s8, 1
	v_rcp_f32_e32 v5, v1
	v_fma_f32 v7, -v1, v5, 1.0
	v_fmac_f32_e32 v5, v7, v5
	v_mul_f32_e32 v7, v4, v5
	v_fma_f32 v8, -v1, v7, v4
	v_fmac_f32_e32 v7, v8, v5
	v_fma_f32 v1, -v1, v7, v4
	v_div_fmas_f32 v1, v1, v5, v7
	v_mov_b32_e32 v5, 0
	v_lshl_or_b32 v4, s6, 6, v20
	v_lshlrev_b64 v[4:5], 2, v[4:5]
	v_mov_b32_e32 v7, s49
	v_add_co_u32_e32 v4, vcc, s48, v4
	v_addc_co_u32_e32 v5, vcc, v7, v5, vcc
	s_cselect_b64 vcc, -1, 0
	v_div_fixup_f32 v1, v1, v26, v6
	v_cndmask_b32_e32 v1, v6, v1, vcc
	global_store_dword v[4:5], v1, off
.LBB9_65:
	s_or_b64 exec, exec, s[4:5]
	s_branch .LBB9_67
.LBB9_66:
	v_mov_b32_e32 v3, v19
.LBB9_67:
	v_mov_b32_e32 v19, v3
	v_mov_b32_e32 v18, v2
.LBB9_68:
	s_load_dword s4, s[12:13], 0x4
	v_cmp_gt_u32_e32 vcc, 2, v20
	v_or_b32_e32 v0, s33, v0
	s_waitcnt lgkmcnt(0)
	s_cmp_lg_u32 s4, 1
	s_cselect_b64 s[8:9], -1, 0
	s_and_b64 s[8:9], s[8:9], vcc
	v_cmp_gt_i32_e32 vcc, s22, v0
	s_and_b64 s[8:9], s[8:9], vcc
	s_and_saveexec_b64 s[10:11], s[8:9]
	s_cbranch_execz .LBB9_70
; %bb.69:
	v_add_u32_e32 v0, s54, v0
	v_mul_lo_u32 v1, v0, s23
	v_mov_b32_e32 v3, 0
	v_cmp_eq_u32_e32 vcc, 1, v20
	v_cndmask_b32_e32 v0, v18, v19, vcc
	v_add_u32_e32 v1, s24, v1
	v_mul_lo_u32 v2, s4, v1
	v_mov_b32_e32 v4, s51
	v_cndmask_b32_e32 v1, v25, v26, vcc
	v_add_u32_e32 v2, s7, v2
	v_lshlrev_b64 v[2:3], 3, v[2:3]
	v_add_co_u32_e32 v2, vcc, s50, v2
	v_addc_co_u32_e32 v3, vcc, v4, v3, vcc
	global_store_dwordx2 v[2:3], v[0:1], off
.LBB9_70:
	s_endpgm
	.section	.rodata,"a",@progbits
	.p2align	6, 0x0
	.amdhsa_kernel _ZL18flash_attn_ext_vecILi64ELi2EL9ggml_type2ELS0_8ELb0EEvPKcS2_S2_S2_S2_PKiPfP15HIP_vector_typeIfLj2EEffffjfiS6_IjLj3EEiiiiiiiiiiiliiliiiiil
		.amdhsa_group_segment_fixed_size 1536
		.amdhsa_private_segment_fixed_size 32
		.amdhsa_kernarg_size 464
		.amdhsa_user_sgpr_count 6
		.amdhsa_user_sgpr_private_segment_buffer 1
		.amdhsa_user_sgpr_dispatch_ptr 0
		.amdhsa_user_sgpr_queue_ptr 0
		.amdhsa_user_sgpr_kernarg_segment_ptr 1
		.amdhsa_user_sgpr_dispatch_id 0
		.amdhsa_user_sgpr_flat_scratch_init 0
		.amdhsa_user_sgpr_private_segment_size 0
		.amdhsa_uses_dynamic_stack 0
		.amdhsa_system_sgpr_private_segment_wavefront_offset 1
		.amdhsa_system_sgpr_workgroup_id_x 1
		.amdhsa_system_sgpr_workgroup_id_y 1
		.amdhsa_system_sgpr_workgroup_id_z 1
		.amdhsa_system_sgpr_workgroup_info 0
		.amdhsa_system_vgpr_workitem_id 1
		.amdhsa_next_free_vgpr 160
		.amdhsa_next_free_sgpr 64
		.amdhsa_reserve_vcc 1
		.amdhsa_reserve_flat_scratch 0
		.amdhsa_float_round_mode_32 0
		.amdhsa_float_round_mode_16_64 0
		.amdhsa_float_denorm_mode_32 3
		.amdhsa_float_denorm_mode_16_64 3
		.amdhsa_dx10_clamp 1
		.amdhsa_ieee_mode 1
		.amdhsa_fp16_overflow 0
		.amdhsa_exception_fp_ieee_invalid_op 0
		.amdhsa_exception_fp_denorm_src 0
		.amdhsa_exception_fp_ieee_div_zero 0
		.amdhsa_exception_fp_ieee_overflow 0
		.amdhsa_exception_fp_ieee_underflow 0
		.amdhsa_exception_fp_ieee_inexact 0
		.amdhsa_exception_int_div_zero 0
	.end_amdhsa_kernel
	.section	.text._ZL18flash_attn_ext_vecILi64ELi2EL9ggml_type2ELS0_8ELb0EEvPKcS2_S2_S2_S2_PKiPfP15HIP_vector_typeIfLj2EEffffjfiS6_IjLj3EEiiiiiiiiiiiliiliiiiil,"axG",@progbits,_ZL18flash_attn_ext_vecILi64ELi2EL9ggml_type2ELS0_8ELb0EEvPKcS2_S2_S2_S2_PKiPfP15HIP_vector_typeIfLj2EEffffjfiS6_IjLj3EEiiiiiiiiiiiliiliiiiil,comdat
.Lfunc_end9:
	.size	_ZL18flash_attn_ext_vecILi64ELi2EL9ggml_type2ELS0_8ELb0EEvPKcS2_S2_S2_S2_PKiPfP15HIP_vector_typeIfLj2EEffffjfiS6_IjLj3EEiiiiiiiiiiiliiliiiiil, .Lfunc_end9-_ZL18flash_attn_ext_vecILi64ELi2EL9ggml_type2ELS0_8ELb0EEvPKcS2_S2_S2_S2_PKiPfP15HIP_vector_typeIfLj2EEffffjfiS6_IjLj3EEiiiiiiiiiiiliiliiiiil
                                        ; -- End function
	.set _ZL18flash_attn_ext_vecILi64ELi2EL9ggml_type2ELS0_8ELb0EEvPKcS2_S2_S2_S2_PKiPfP15HIP_vector_typeIfLj2EEffffjfiS6_IjLj3EEiiiiiiiiiiiliiliiiiil.num_vgpr, 160
	.set _ZL18flash_attn_ext_vecILi64ELi2EL9ggml_type2ELS0_8ELb0EEvPKcS2_S2_S2_S2_PKiPfP15HIP_vector_typeIfLj2EEffffjfiS6_IjLj3EEiiiiiiiiiiiliiliiiiil.num_agpr, 0
	.set _ZL18flash_attn_ext_vecILi64ELi2EL9ggml_type2ELS0_8ELb0EEvPKcS2_S2_S2_S2_PKiPfP15HIP_vector_typeIfLj2EEffffjfiS6_IjLj3EEiiiiiiiiiiiliiliiiiil.numbered_sgpr, 64
	.set _ZL18flash_attn_ext_vecILi64ELi2EL9ggml_type2ELS0_8ELb0EEvPKcS2_S2_S2_S2_PKiPfP15HIP_vector_typeIfLj2EEffffjfiS6_IjLj3EEiiiiiiiiiiiliiliiiiil.num_named_barrier, 0
	.set _ZL18flash_attn_ext_vecILi64ELi2EL9ggml_type2ELS0_8ELb0EEvPKcS2_S2_S2_S2_PKiPfP15HIP_vector_typeIfLj2EEffffjfiS6_IjLj3EEiiiiiiiiiiiliiliiiiil.private_seg_size, 32
	.set _ZL18flash_attn_ext_vecILi64ELi2EL9ggml_type2ELS0_8ELb0EEvPKcS2_S2_S2_S2_PKiPfP15HIP_vector_typeIfLj2EEffffjfiS6_IjLj3EEiiiiiiiiiiiliiliiiiil.uses_vcc, 1
	.set _ZL18flash_attn_ext_vecILi64ELi2EL9ggml_type2ELS0_8ELb0EEvPKcS2_S2_S2_S2_PKiPfP15HIP_vector_typeIfLj2EEffffjfiS6_IjLj3EEiiiiiiiiiiiliiliiiiil.uses_flat_scratch, 0
	.set _ZL18flash_attn_ext_vecILi64ELi2EL9ggml_type2ELS0_8ELb0EEvPKcS2_S2_S2_S2_PKiPfP15HIP_vector_typeIfLj2EEffffjfiS6_IjLj3EEiiiiiiiiiiiliiliiiiil.has_dyn_sized_stack, 0
	.set _ZL18flash_attn_ext_vecILi64ELi2EL9ggml_type2ELS0_8ELb0EEvPKcS2_S2_S2_S2_PKiPfP15HIP_vector_typeIfLj2EEffffjfiS6_IjLj3EEiiiiiiiiiiiliiliiiiil.has_recursion, 0
	.set _ZL18flash_attn_ext_vecILi64ELi2EL9ggml_type2ELS0_8ELb0EEvPKcS2_S2_S2_S2_PKiPfP15HIP_vector_typeIfLj2EEffffjfiS6_IjLj3EEiiiiiiiiiiiliiliiiiil.has_indirect_call, 0
	.section	.AMDGPU.csdata,"",@progbits
; Kernel info:
; codeLenInByte = 13320
; TotalNumSgprs: 68
; NumVgprs: 160
; ScratchSize: 32
; MemoryBound: 0
; FloatMode: 240
; IeeeMode: 1
; LDSByteSize: 1536 bytes/workgroup (compile time only)
; SGPRBlocks: 8
; VGPRBlocks: 39
; NumSGPRsForWavesPerEU: 68
; NumVGPRsForWavesPerEU: 160
; Occupancy: 1
; WaveLimiterHint : 0
; COMPUTE_PGM_RSRC2:SCRATCH_EN: 1
; COMPUTE_PGM_RSRC2:USER_SGPR: 6
; COMPUTE_PGM_RSRC2:TRAP_HANDLER: 0
; COMPUTE_PGM_RSRC2:TGID_X_EN: 1
; COMPUTE_PGM_RSRC2:TGID_Y_EN: 1
; COMPUTE_PGM_RSRC2:TGID_Z_EN: 1
; COMPUTE_PGM_RSRC2:TIDIG_COMP_CNT: 1
	.section	.text._ZL25flash_attn_mask_to_KV_maxILi2EEvPK7__half2Piiii,"axG",@progbits,_ZL25flash_attn_mask_to_KV_maxILi2EEvPK7__half2Piiii,comdat
	.globl	_ZL25flash_attn_mask_to_KV_maxILi2EEvPK7__half2Piiii ; -- Begin function _ZL25flash_attn_mask_to_KV_maxILi2EEvPK7__half2Piiii
	.p2align	8
	.type	_ZL25flash_attn_mask_to_KV_maxILi2EEvPK7__half2Piiii,@function
_ZL25flash_attn_mask_to_KV_maxILi2EEvPK7__half2Piiii: ; @_ZL25flash_attn_mask_to_KV_maxILi2EEvPK7__half2Piiii
; %bb.0:
	s_load_dwordx4 s[8:11], s[4:5], 0x0
	v_cmp_gt_u32_e32 vcc, 32, v0
	s_and_saveexec_b64 s[0:1], vcc
; %bb.1:
	v_lshlrev_b32_e32 v1, 2, v0
	v_mov_b32_e32 v2, 1
	ds_write_b32 v1, v2
; %bb.2:
	s_or_b64 exec, exec, s[0:1]
	s_load_dwordx4 s[12:15], s[4:5], 0x10
	s_waitcnt lgkmcnt(0)
	s_load_dword s15, s[4:5], 0x20
	v_and_b32_e32 v1, 31, v0
	v_lshlrev_b32_e32 v4, 2, v1
                                        ; kill: killed $sgpr4_sgpr5
	v_lshrrev_b32_e32 v3, 3, v0
	s_mul_i32 s1, s6, s13
	s_mul_i32 s0, s14, s7
	s_lshl_b32 s1, s1, 1
	s_add_i32 s0, s0, s1
	s_ashr_i32 s1, s0, 31
	s_lshl_b64 s[0:1], s[0:1], 2
	s_add_u32 s14, s8, s0
	s_addc_u32 s16, s9, s1
	v_cmp_eq_u32_e64 s[0:1], 0, v1
	v_mbcnt_lo_u32_b32 v1, -1, 0
	v_mbcnt_hi_u32_b32 v5, -1, v1
	v_and_b32_e32 v1, 0x60, v5
	s_lshl_b32 s12, s12, 8
	s_mov_b64 s[4:5], 0
	v_mov_b32_e32 v2, 0
	s_movk_i32 s17, 0x204
	v_add_u32_e32 v6, 32, v1
	v_xor_b32_e32 v7, 16, v5
	v_xor_b32_e32 v8, 8, v5
	;; [unrolled: 1-line block ×5, first 2 shown]
	s_waitcnt lgkmcnt(0)
	s_barrier
                                        ; implicit-def: $sgpr2_sgpr3
	s_branch .LBB10_5
.LBB10_3:                               ;   in Loop: Header=BB10_5 Depth=1
	s_or_b64 exec, exec, s[8:9]
	s_waitcnt lgkmcnt(0)
	s_barrier
	ds_read_b32 v16, v4
	s_waitcnt lgkmcnt(0)
	s_barrier
	ds_bpermute_b32 v1, v1, v16
	v_cmp_ne_u32_e32 vcc, 0, v16
	s_waitcnt lgkmcnt(0)
	v_cmp_ne_u32_e64 s[2:3], 0, v1
	s_and_b64 s[2:3], vcc, s[2:3]
	v_cndmask_b32_e64 v1, 0, 1, s[2:3]
	ds_bpermute_b32 v1, v12, v1
	s_waitcnt lgkmcnt(0)
	v_cmp_ne_u32_e32 vcc, 0, v1
	s_and_b64 s[2:3], vcc, s[2:3]
	v_cndmask_b32_e64 v1, 0, 1, s[2:3]
	ds_bpermute_b32 v1, v13, v1
	s_waitcnt lgkmcnt(0)
	v_cmp_ne_u32_e32 vcc, 0, v1
	;; [unrolled: 5-line block ×3, first 2 shown]
	s_and_b64 s[2:3], vcc, s[2:3]
	v_cndmask_b32_e64 v1, 0, 1, s[2:3]
	ds_bpermute_b32 v1, v15, v1
	s_xor_b64 s[2:3], s[2:3], -1
	s_waitcnt lgkmcnt(0)
	v_cmp_eq_u32_e32 vcc, 0, v1
	s_or_b64 s[2:3], vcc, s[2:3]
.LBB10_4:                               ;   in Loop: Header=BB10_5 Depth=1
	s_and_b64 s[8:9], exec, s[2:3]
	s_or_b64 s[4:5], s[8:9], s[4:5]
	v_mov_b32_e32 v1, s12
	s_mov_b32 s12, s18
	s_andn2_b64 exec, exec, s[4:5]
	s_cbranch_execz .LBB10_12
.LBB10_5:                               ; =>This Inner Loop Header: Depth=1
	s_add_i32 s18, s12, 0xffffff00
	s_or_b64 s[2:3], s[2:3], exec
	s_cmp_lt_i32 s18, 0
	s_cbranch_scc1 .LBB10_4
; %bb.6:                                ;   in Loop: Header=BB10_5 Depth=1
	s_lshr_b32 s2, s18, 1
	v_add_u32_e32 v1, s2, v0
	v_lshlrev_b64 v[12:13], 2, v[1:2]
	v_mov_b32_e32 v14, s16
	v_add_co_u32_e32 v12, vcc, s14, v12
	v_addc_co_u32_e32 v13, vcc, v14, v13, vcc
	global_load_dword v12, v[12:13], off
	s_waitcnt vmcnt(0)
	v_cmp_class_f16_e64 s[2:3], v12, s17
	v_cmp_class_f16_sdwa s[8:9], v12, s17 src0_sel:WORD_1 src1_sel:DWORD
	s_and_b64 s[8:9], s[2:3], s[8:9]
	v_mov_b32_e32 v12, 0
	s_and_saveexec_b64 s[2:3], s[8:9]
	s_cbranch_execz .LBB10_10
; %bb.7:                                ;   in Loop: Header=BB10_5 Depth=1
	v_add_u32_e32 v12, s13, v1
	v_ashrrev_i32_e32 v13, 31, v12
	v_lshlrev_b64 v[12:13], 2, v[12:13]
	v_mov_b32_e32 v1, s16
	v_add_co_u32_e32 v12, vcc, s14, v12
	v_addc_co_u32_e32 v13, vcc, v1, v13, vcc
	global_load_dword v1, v[12:13], off
	v_mov_b32_e32 v12, 0
	s_waitcnt vmcnt(0)
	v_cmp_class_f16_e64 s[20:21], v1, s17
	s_and_saveexec_b64 s[8:9], s[20:21]
; %bb.8:                                ;   in Loop: Header=BB10_5 Depth=1
	v_cmp_class_f16_sdwa s[20:21], v1, s17 src0_sel:WORD_1 src1_sel:DWORD
	v_cndmask_b32_e64 v12, 0, 1, s[20:21]
; %bb.9:                                ;   in Loop: Header=BB10_5 Depth=1
	s_or_b64 exec, exec, s[8:9]
.LBB10_10:                              ;   in Loop: Header=BB10_5 Depth=1
	s_or_b64 exec, exec, s[2:3]
	v_cmp_lt_i32_e32 vcc, v7, v6
	v_cndmask_b32_e32 v1, v5, v7, vcc
	v_lshlrev_b32_e32 v1, 2, v1
	ds_bpermute_b32 v13, v1, v12
	v_cmp_ne_u32_e32 vcc, 0, v12
	s_waitcnt lgkmcnt(0)
	v_cmp_ne_u32_e64 s[2:3], 0, v13
	s_and_b64 s[2:3], vcc, s[2:3]
	v_cmp_lt_i32_e32 vcc, v8, v6
	v_cndmask_b32_e32 v12, v5, v8, vcc
	v_cndmask_b32_e64 v13, 0, 1, s[2:3]
	v_lshlrev_b32_e32 v12, 2, v12
	ds_bpermute_b32 v13, v12, v13
	s_waitcnt lgkmcnt(0)
	v_cmp_ne_u32_e32 vcc, 0, v13
	s_and_b64 s[2:3], vcc, s[2:3]
	v_cmp_lt_i32_e32 vcc, v9, v6
	v_cndmask_b32_e32 v13, v5, v9, vcc
	v_cndmask_b32_e64 v14, 0, 1, s[2:3]
	v_lshlrev_b32_e32 v13, 2, v13
	ds_bpermute_b32 v14, v13, v14
	s_waitcnt lgkmcnt(0)
	v_cmp_ne_u32_e32 vcc, 0, v14
	;; [unrolled: 8-line block ×3, first 2 shown]
	s_and_b64 s[2:3], vcc, s[2:3]
	v_cmp_lt_i32_e32 vcc, v11, v6
	v_cndmask_b32_e32 v15, v5, v11, vcc
	v_cndmask_b32_e64 v16, 0, 1, s[2:3]
	v_lshlrev_b32_e32 v15, 2, v15
	ds_bpermute_b32 v16, v15, v16
	s_and_saveexec_b64 s[8:9], s[0:1]
	s_cbranch_execz .LBB10_3
; %bb.11:                               ;   in Loop: Header=BB10_5 Depth=1
	s_waitcnt lgkmcnt(0)
	v_cmp_ne_u32_e32 vcc, 0, v16
	s_and_b64 s[2:3], vcc, s[2:3]
	v_cndmask_b32_e64 v16, 0, 1, s[2:3]
	ds_write_b32 v3, v16
	s_branch .LBB10_3
.LBB10_12:
	s_or_b64 exec, exec, s[4:5]
	v_cmp_eq_u32_e32 vcc, 0, v0
	s_and_saveexec_b64 s[0:1], vcc
	s_cbranch_execz .LBB10_14
; %bb.13:
	s_mul_i32 s0, s15, s7
	s_add_i32 s0, s0, s6
	s_ashr_i32 s1, s0, 31
	s_lshl_b64 s[0:1], s[0:1], 2
	s_add_u32 s0, s10, s0
	s_addc_u32 s1, s11, s1
	v_mov_b32_e32 v0, 0
	global_store_dword v0, v1, s[0:1]
.LBB10_14:
	s_endpgm
	.section	.rodata,"a",@progbits
	.p2align	6, 0x0
	.amdhsa_kernel _ZL25flash_attn_mask_to_KV_maxILi2EEvPK7__half2Piiii
		.amdhsa_group_segment_fixed_size 128
		.amdhsa_private_segment_fixed_size 0
		.amdhsa_kernarg_size 288
		.amdhsa_user_sgpr_count 6
		.amdhsa_user_sgpr_private_segment_buffer 1
		.amdhsa_user_sgpr_dispatch_ptr 0
		.amdhsa_user_sgpr_queue_ptr 0
		.amdhsa_user_sgpr_kernarg_segment_ptr 1
		.amdhsa_user_sgpr_dispatch_id 0
		.amdhsa_user_sgpr_flat_scratch_init 0
		.amdhsa_user_sgpr_private_segment_size 0
		.amdhsa_uses_dynamic_stack 0
		.amdhsa_system_sgpr_private_segment_wavefront_offset 0
		.amdhsa_system_sgpr_workgroup_id_x 1
		.amdhsa_system_sgpr_workgroup_id_y 1
		.amdhsa_system_sgpr_workgroup_id_z 0
		.amdhsa_system_sgpr_workgroup_info 0
		.amdhsa_system_vgpr_workitem_id 0
		.amdhsa_next_free_vgpr 17
		.amdhsa_next_free_sgpr 22
		.amdhsa_reserve_vcc 1
		.amdhsa_reserve_flat_scratch 0
		.amdhsa_float_round_mode_32 0
		.amdhsa_float_round_mode_16_64 0
		.amdhsa_float_denorm_mode_32 3
		.amdhsa_float_denorm_mode_16_64 3
		.amdhsa_dx10_clamp 1
		.amdhsa_ieee_mode 1
		.amdhsa_fp16_overflow 0
		.amdhsa_exception_fp_ieee_invalid_op 0
		.amdhsa_exception_fp_denorm_src 0
		.amdhsa_exception_fp_ieee_div_zero 0
		.amdhsa_exception_fp_ieee_overflow 0
		.amdhsa_exception_fp_ieee_underflow 0
		.amdhsa_exception_fp_ieee_inexact 0
		.amdhsa_exception_int_div_zero 0
	.end_amdhsa_kernel
	.section	.text._ZL25flash_attn_mask_to_KV_maxILi2EEvPK7__half2Piiii,"axG",@progbits,_ZL25flash_attn_mask_to_KV_maxILi2EEvPK7__half2Piiii,comdat
.Lfunc_end10:
	.size	_ZL25flash_attn_mask_to_KV_maxILi2EEvPK7__half2Piiii, .Lfunc_end10-_ZL25flash_attn_mask_to_KV_maxILi2EEvPK7__half2Piiii
                                        ; -- End function
	.set _ZL25flash_attn_mask_to_KV_maxILi2EEvPK7__half2Piiii.num_vgpr, 17
	.set _ZL25flash_attn_mask_to_KV_maxILi2EEvPK7__half2Piiii.num_agpr, 0
	.set _ZL25flash_attn_mask_to_KV_maxILi2EEvPK7__half2Piiii.numbered_sgpr, 22
	.set _ZL25flash_attn_mask_to_KV_maxILi2EEvPK7__half2Piiii.num_named_barrier, 0
	.set _ZL25flash_attn_mask_to_KV_maxILi2EEvPK7__half2Piiii.private_seg_size, 0
	.set _ZL25flash_attn_mask_to_KV_maxILi2EEvPK7__half2Piiii.uses_vcc, 1
	.set _ZL25flash_attn_mask_to_KV_maxILi2EEvPK7__half2Piiii.uses_flat_scratch, 0
	.set _ZL25flash_attn_mask_to_KV_maxILi2EEvPK7__half2Piiii.has_dyn_sized_stack, 0
	.set _ZL25flash_attn_mask_to_KV_maxILi2EEvPK7__half2Piiii.has_recursion, 0
	.set _ZL25flash_attn_mask_to_KV_maxILi2EEvPK7__half2Piiii.has_indirect_call, 0
	.section	.AMDGPU.csdata,"",@progbits
; Kernel info:
; codeLenInByte = 836
; TotalNumSgprs: 26
; NumVgprs: 17
; ScratchSize: 0
; MemoryBound: 0
; FloatMode: 240
; IeeeMode: 1
; LDSByteSize: 128 bytes/workgroup (compile time only)
; SGPRBlocks: 3
; VGPRBlocks: 4
; NumSGPRsForWavesPerEU: 26
; NumVGPRsForWavesPerEU: 17
; Occupancy: 10
; WaveLimiterHint : 0
; COMPUTE_PGM_RSRC2:SCRATCH_EN: 0
; COMPUTE_PGM_RSRC2:USER_SGPR: 6
; COMPUTE_PGM_RSRC2:TRAP_HANDLER: 0
; COMPUTE_PGM_RSRC2:TGID_X_EN: 1
; COMPUTE_PGM_RSRC2:TGID_Y_EN: 1
; COMPUTE_PGM_RSRC2:TGID_Z_EN: 0
; COMPUTE_PGM_RSRC2:TIDIG_COMP_CNT: 0
	.section	.text._ZL33flash_attn_stream_k_fixup_uniformILi64ELi2ELi1EEvPfPK15HIP_vector_typeIfLj2EEiiiiiiS1_IjLj3EES5_S5_,"axG",@progbits,_ZL33flash_attn_stream_k_fixup_uniformILi64ELi2ELi1EEvPfPK15HIP_vector_typeIfLj2EEiiiiiiS1_IjLj3EES5_S5_,comdat
	.globl	_ZL33flash_attn_stream_k_fixup_uniformILi64ELi2ELi1EEvPfPK15HIP_vector_typeIfLj2EEiiiiiiS1_IjLj3EES5_S5_ ; -- Begin function _ZL33flash_attn_stream_k_fixup_uniformILi64ELi2ELi1EEvPfPK15HIP_vector_typeIfLj2EEiiiiiiS1_IjLj3EES5_S5_
	.p2align	8
	.type	_ZL33flash_attn_stream_k_fixup_uniformILi64ELi2ELi1EEvPfPK15HIP_vector_typeIfLj2EEiiiiiiS1_IjLj3EES5_S5_,@function
_ZL33flash_attn_stream_k_fixup_uniformILi64ELi2ELi1EEvPfPK15HIP_vector_typeIfLj2EEiiiiiiS1_IjLj3EES5_S5_: ; @_ZL33flash_attn_stream_k_fixup_uniformILi64ELi2ELi1EEvPfPK15HIP_vector_typeIfLj2EEiiiiiiS1_IjLj3EES5_S5_
; %bb.0:
	s_load_dwordx8 s[12:19], s[4:5], 0x1c
	s_load_dwordx2 s[10:11], s[4:5], 0x10
	s_load_dwordx4 s[0:3], s[4:5], 0x3c
	s_waitcnt lgkmcnt(0)
	s_mul_hi_u32 s9, s15, s6
	s_add_i32 s9, s6, s9
	s_lshr_b32 s9, s9, s16
	s_mul_i32 s15, s9, s17
	s_sub_i32 s15, s6, s15
	s_mul_hi_u32 s16, s15, s18
	s_add_i32 s16, s15, s16
	s_lshr_b32 s16, s16, s19
	s_mul_i32 s0, s16, s0
	s_sub_i32 s0, s15, s0
	;; [unrolled: 5-line block ×3, first 2 shown]
	s_lshl_b32 s0, s17, 1
	s_add_i32 s0, s0, s7
	s_cmp_lt_i32 s0, s10
	s_cselect_b64 s[0:1], -1, 0
	s_add_i32 s2, s15, s8
	s_cmp_lt_i32 s2, s13
	s_cselect_b64 s[2:3], -1, 0
	s_and_b64 s[0:1], s[0:1], s[2:3]
	s_andn2_b64 vcc, exec, s[0:1]
	s_cbranch_vccnz .LBB11_6
; %bb.1:
	s_load_dwordx4 s[0:3], s[4:5], 0x0
	s_mul_i32 s4, s9, s10
	s_add_i32 s4, s4, s7
	s_mul_i32 s4, s4, s11
	s_mul_i32 s16, s16, s13
	s_add_i32 s4, s4, s8
	s_add_i32 s4, s4, s16
	s_mul_i32 s5, s11, s17
	s_add_i32 s4, s4, s15
	s_lshl_b32 s5, s5, 7
	s_lshl_b32 s4, s4, 6
	s_add_i32 s5, s5, s4
	v_or_b32_e32 v1, s5, v0
	v_ashrrev_i32_e32 v2, 31, v1
	v_lshlrev_b64 v[1:2], 2, v[1:2]
	s_waitcnt lgkmcnt(0)
	v_mov_b32_e32 v3, s1
	v_add_co_u32_e32 v1, vcc, s0, v1
	v_addc_co_u32_e32 v2, vcc, v3, v2, vcc
	global_load_dword v8, v[1:2], off
	s_add_i32 s4, s7, s8
	s_mul_i32 s7, s14, s6
	s_add_i32 s5, s7, s14
	s_lshl_b32 s0, s5, 1
	s_add_i32 s0, s4, s0
	s_add_i32 s0, s0, -2
	s_ashr_i32 s1, s0, 31
	s_lshl_b64 s[0:1], s[0:1], 3
	s_add_u32 s0, s2, s0
	s_addc_u32 s1, s3, s1
	s_load_dword s10, s[0:1], 0x4
	s_add_i32 s8, s5, -2
	s_cmp_lt_i32 s8, s7
	s_cbranch_scc1 .LBB11_4
; %bb.2:
	s_lshl_b32 s8, s12, 3
	s_ashr_i32 s9, s8, 31
	s_lshl_b64 s[8:9], s[8:9], 2
	s_add_u32 s8, s2, s8
	s_addc_u32 s11, s3, s9
	s_add_i32 s6, s6, 1
	s_add_i32 s9, s5, -1
	s_mul_i32 s5, s14, s6
	s_load_dword s0, s[0:1], 0x0
	s_lshl_b32 s1, s4, 6
	s_lshl_b32 s6, s5, 7
	s_add_i32 s1, s1, s6
	v_or_b32_e32 v0, s1, v0
	s_lshl_b32 s1, s5, 1
	s_add_i32 s1, s4, s1
	s_lshl_b32 s4, s12, 1
	s_add_i32 s1, s1, s4
	v_add_u32_e32 v3, 0xffffff00, v0
	s_add_i32 s4, s1, -4
	s_waitcnt lgkmcnt(0)
	v_mov_b32_e32 v7, s10
	v_mov_b32_e32 v6, s0
	;; [unrolled: 1-line block ×3, first 2 shown]
	s_mov_b32 s6, 0x3fb8aa3b
	s_mov_b32 s10, 0xc2ce8ed0
	;; [unrolled: 1-line block ×3, first 2 shown]
	v_mov_b32_e32 v5, 0x7f800000
	s_mov_b32 s12, 0xc1a00000
.LBB11_3:                               ; =>This Inner Loop Header: Depth=1
	v_ashrrev_i32_e32 v4, 31, v3
	v_lshlrev_b64 v[9:10], 2, v[3:4]
	s_ashr_i32 s5, s4, 31
	v_add_co_u32_e32 v9, vcc, s8, v9
	v_addc_co_u32_e32 v10, vcc, v0, v10, vcc
	global_load_dword v4, v[9:10], off
	s_lshl_b64 s[0:1], s[4:5], 3
	s_add_u32 s0, s2, s0
	s_addc_u32 s1, s3, s1
	s_load_dwordx2 s[14:15], s[0:1], 0x0
	s_waitcnt vmcnt(1)
	v_mov_b32_e32 v9, v8
	v_max_f32_e32 v8, v6, v6
	v_mov_b32_e32 v10, v7
	s_add_i32 s9, s9, -1
	s_waitcnt lgkmcnt(0)
	v_max_f32_e64 v7, s14, s14
	v_max_f32_e32 v7, v8, v7
	v_sub_f32_e32 v11, s14, v7
	v_sub_f32_e32 v8, v6, v7
	v_mul_f32_e32 v12, 0x3fb8aa3b, v11
	v_mov_b32_e32 v6, v7
	v_mul_f32_e32 v7, 0x3fb8aa3b, v8
	v_fma_f32 v15, v11, s6, -v12
	v_rndne_f32_e32 v16, v12
	v_fma_f32 v13, v8, s6, -v7
	v_rndne_f32_e32 v14, v7
	v_fmac_f32_e32 v15, 0x32a5705f, v11
	v_sub_f32_e32 v12, v12, v16
	v_fmac_f32_e32 v13, 0x32a5705f, v8
	v_sub_f32_e32 v7, v7, v14
	v_add_f32_e32 v12, v12, v15
	v_cvt_i32_f32_e32 v16, v16
	v_add_f32_e32 v7, v7, v13
	v_exp_f32_e32 v12, v12
	v_cvt_i32_f32_e32 v14, v14
	v_exp_f32_e32 v7, v7
	v_cmp_ngt_f32_e32 vcc, s10, v11
	v_ldexp_f32 v12, v12, v16
	v_cmp_ngt_f32_e64 s[0:1], s10, v8
	v_ldexp_f32 v7, v7, v14
	v_cndmask_b32_e32 v12, 0, v12, vcc
	v_cmp_nlt_f32_e32 vcc, s11, v11
	v_cndmask_b32_e64 v7, 0, v7, s[0:1]
	v_cmp_nlt_f32_e64 s[0:1], s11, v8
	v_cndmask_b32_e32 v12, v5, v12, vcc
	v_cmp_le_f32_e32 vcc, s12, v11
	v_cndmask_b32_e64 v7, v5, v7, s[0:1]
	v_cmp_le_f32_e64 s[0:1], s12, v8
	v_cndmask_b32_e32 v8, 0, v12, vcc
	s_add_i32 s4, s4, -2
	v_cndmask_b32_e64 v11, 0, v7, s[0:1]
	v_mul_f32_e32 v7, s15, v8
	v_add_u32_e32 v3, 0xffffff80, v3
	s_cmp_le_i32 s9, s7
	v_fmac_f32_e32 v7, v10, v11
	s_waitcnt vmcnt(0)
	v_mul_f32_e32 v8, v4, v8
	v_fmac_f32_e32 v8, v9, v11
	s_cbranch_scc0 .LBB11_3
	s_branch .LBB11_5
.LBB11_4:
	s_waitcnt lgkmcnt(0)
	v_mov_b32_e32 v7, s10
.LBB11_5:
	s_waitcnt vmcnt(0)
	v_div_scale_f32 v0, s[0:1], v7, v7, v8
	v_div_scale_f32 v3, vcc, v8, v7, v8
	v_rcp_f32_e32 v4, v0
	v_fma_f32 v5, -v0, v4, 1.0
	v_fmac_f32_e32 v4, v5, v4
	v_mul_f32_e32 v5, v3, v4
	v_fma_f32 v6, -v0, v5, v3
	v_fmac_f32_e32 v5, v6, v4
	v_fma_f32 v0, -v0, v5, v3
	v_div_fmas_f32 v0, v0, v4, v5
	v_div_fixup_f32 v0, v0, v7, v8
	global_store_dword v[1:2], v0, off
.LBB11_6:
	s_endpgm
	.section	.rodata,"a",@progbits
	.p2align	6, 0x0
	.amdhsa_kernel _ZL33flash_attn_stream_k_fixup_uniformILi64ELi2ELi1EEvPfPK15HIP_vector_typeIfLj2EEiiiiiiS1_IjLj3EES5_S5_
		.amdhsa_group_segment_fixed_size 0
		.amdhsa_private_segment_fixed_size 0
		.amdhsa_kernarg_size 76
		.amdhsa_user_sgpr_count 6
		.amdhsa_user_sgpr_private_segment_buffer 1
		.amdhsa_user_sgpr_dispatch_ptr 0
		.amdhsa_user_sgpr_queue_ptr 0
		.amdhsa_user_sgpr_kernarg_segment_ptr 1
		.amdhsa_user_sgpr_dispatch_id 0
		.amdhsa_user_sgpr_flat_scratch_init 0
		.amdhsa_user_sgpr_private_segment_size 0
		.amdhsa_uses_dynamic_stack 0
		.amdhsa_system_sgpr_private_segment_wavefront_offset 0
		.amdhsa_system_sgpr_workgroup_id_x 1
		.amdhsa_system_sgpr_workgroup_id_y 1
		.amdhsa_system_sgpr_workgroup_id_z 1
		.amdhsa_system_sgpr_workgroup_info 0
		.amdhsa_system_vgpr_workitem_id 0
		.amdhsa_next_free_vgpr 17
		.amdhsa_next_free_sgpr 20
		.amdhsa_reserve_vcc 1
		.amdhsa_reserve_flat_scratch 0
		.amdhsa_float_round_mode_32 0
		.amdhsa_float_round_mode_16_64 0
		.amdhsa_float_denorm_mode_32 3
		.amdhsa_float_denorm_mode_16_64 3
		.amdhsa_dx10_clamp 1
		.amdhsa_ieee_mode 1
		.amdhsa_fp16_overflow 0
		.amdhsa_exception_fp_ieee_invalid_op 0
		.amdhsa_exception_fp_denorm_src 0
		.amdhsa_exception_fp_ieee_div_zero 0
		.amdhsa_exception_fp_ieee_overflow 0
		.amdhsa_exception_fp_ieee_underflow 0
		.amdhsa_exception_fp_ieee_inexact 0
		.amdhsa_exception_int_div_zero 0
	.end_amdhsa_kernel
	.section	.text._ZL33flash_attn_stream_k_fixup_uniformILi64ELi2ELi1EEvPfPK15HIP_vector_typeIfLj2EEiiiiiiS1_IjLj3EES5_S5_,"axG",@progbits,_ZL33flash_attn_stream_k_fixup_uniformILi64ELi2ELi1EEvPfPK15HIP_vector_typeIfLj2EEiiiiiiS1_IjLj3EES5_S5_,comdat
.Lfunc_end11:
	.size	_ZL33flash_attn_stream_k_fixup_uniformILi64ELi2ELi1EEvPfPK15HIP_vector_typeIfLj2EEiiiiiiS1_IjLj3EES5_S5_, .Lfunc_end11-_ZL33flash_attn_stream_k_fixup_uniformILi64ELi2ELi1EEvPfPK15HIP_vector_typeIfLj2EEiiiiiiS1_IjLj3EES5_S5_
                                        ; -- End function
	.set _ZL33flash_attn_stream_k_fixup_uniformILi64ELi2ELi1EEvPfPK15HIP_vector_typeIfLj2EEiiiiiiS1_IjLj3EES5_S5_.num_vgpr, 17
	.set _ZL33flash_attn_stream_k_fixup_uniformILi64ELi2ELi1EEvPfPK15HIP_vector_typeIfLj2EEiiiiiiS1_IjLj3EES5_S5_.num_agpr, 0
	.set _ZL33flash_attn_stream_k_fixup_uniformILi64ELi2ELi1EEvPfPK15HIP_vector_typeIfLj2EEiiiiiiS1_IjLj3EES5_S5_.numbered_sgpr, 20
	.set _ZL33flash_attn_stream_k_fixup_uniformILi64ELi2ELi1EEvPfPK15HIP_vector_typeIfLj2EEiiiiiiS1_IjLj3EES5_S5_.num_named_barrier, 0
	.set _ZL33flash_attn_stream_k_fixup_uniformILi64ELi2ELi1EEvPfPK15HIP_vector_typeIfLj2EEiiiiiiS1_IjLj3EES5_S5_.private_seg_size, 0
	.set _ZL33flash_attn_stream_k_fixup_uniformILi64ELi2ELi1EEvPfPK15HIP_vector_typeIfLj2EEiiiiiiS1_IjLj3EES5_S5_.uses_vcc, 1
	.set _ZL33flash_attn_stream_k_fixup_uniformILi64ELi2ELi1EEvPfPK15HIP_vector_typeIfLj2EEiiiiiiS1_IjLj3EES5_S5_.uses_flat_scratch, 0
	.set _ZL33flash_attn_stream_k_fixup_uniformILi64ELi2ELi1EEvPfPK15HIP_vector_typeIfLj2EEiiiiiiS1_IjLj3EES5_S5_.has_dyn_sized_stack, 0
	.set _ZL33flash_attn_stream_k_fixup_uniformILi64ELi2ELi1EEvPfPK15HIP_vector_typeIfLj2EEiiiiiiS1_IjLj3EES5_S5_.has_recursion, 0
	.set _ZL33flash_attn_stream_k_fixup_uniformILi64ELi2ELi1EEvPfPK15HIP_vector_typeIfLj2EEiiiiiiS1_IjLj3EES5_S5_.has_indirect_call, 0
	.section	.AMDGPU.csdata,"",@progbits
; Kernel info:
; codeLenInByte = 836
; TotalNumSgprs: 24
; NumVgprs: 17
; ScratchSize: 0
; MemoryBound: 0
; FloatMode: 240
; IeeeMode: 1
; LDSByteSize: 0 bytes/workgroup (compile time only)
; SGPRBlocks: 2
; VGPRBlocks: 4
; NumSGPRsForWavesPerEU: 24
; NumVGPRsForWavesPerEU: 17
; Occupancy: 10
; WaveLimiterHint : 0
; COMPUTE_PGM_RSRC2:SCRATCH_EN: 0
; COMPUTE_PGM_RSRC2:USER_SGPR: 6
; COMPUTE_PGM_RSRC2:TRAP_HANDLER: 0
; COMPUTE_PGM_RSRC2:TGID_X_EN: 1
; COMPUTE_PGM_RSRC2:TGID_Y_EN: 1
; COMPUTE_PGM_RSRC2:TGID_Z_EN: 1
; COMPUTE_PGM_RSRC2:TIDIG_COMP_CNT: 0
	.section	.text._ZL33flash_attn_stream_k_fixup_generalILi64ELi2ELi1EEvPfPK15HIP_vector_typeIfLj2EEiiiiS1_IjLj3EES5_S5_S5_,"axG",@progbits,_ZL33flash_attn_stream_k_fixup_generalILi64ELi2ELi1EEvPfPK15HIP_vector_typeIfLj2EEiiiiS1_IjLj3EES5_S5_S5_,comdat
	.globl	_ZL33flash_attn_stream_k_fixup_generalILi64ELi2ELi1EEvPfPK15HIP_vector_typeIfLj2EEiiiiS1_IjLj3EES5_S5_S5_ ; -- Begin function _ZL33flash_attn_stream_k_fixup_generalILi64ELi2ELi1EEvPfPK15HIP_vector_typeIfLj2EEiiiiS1_IjLj3EES5_S5_S5_
	.p2align	8
	.type	_ZL33flash_attn_stream_k_fixup_generalILi64ELi2ELi1EEvPfPK15HIP_vector_typeIfLj2EEiiiiS1_IjLj3EES5_S5_S5_,@function
_ZL33flash_attn_stream_k_fixup_generalILi64ELi2ELi1EEvPfPK15HIP_vector_typeIfLj2EEiiiiS1_IjLj3EES5_S5_S5_: ; @_ZL33flash_attn_stream_k_fixup_generalILi64ELi2ELi1EEvPfPK15HIP_vector_typeIfLj2EEiiiiS1_IjLj3EES5_S5_S5_
; %bb.0:
	s_load_dwordx4 s[0:3], s[4:5], 0x10
	s_load_dword s22, s[4:5], 0x50
	s_mov_b32 s12, 0
	s_waitcnt lgkmcnt(0)
	s_mul_hi_i32 s13, s3, s6
	s_cmp_lg_u64 s[12:13], 0
	s_mul_i32 s9, s3, s6
	s_cbranch_scc0 .LBB12_20
; %bb.1:
	s_add_u32 s10, s22, 0
	s_addc_u32 s11, 0, 0
	s_xor_b64 s[10:11], s[10:11], 0
	v_cvt_f32_u32_e32 v1, s10
	v_cvt_f32_u32_e32 v2, s11
	s_sub_u32 s12, 0, s10
	s_subb_u32 s18, 0, s11
	v_madmk_f32 v1, v2, 0x4f800000, v1
	v_rcp_f32_e32 v1, v1
	v_mul_f32_e32 v1, 0x5f7ffffc, v1
	v_mul_f32_e32 v2, 0x2f800000, v1
	v_trunc_f32_e32 v2, v2
	v_madmk_f32 v1, v2, 0xcf800000, v1
	v_cvt_u32_f32_e32 v2, v2
	v_cvt_u32_f32_e32 v1, v1
	v_readfirstlane_b32 s19, v2
	v_readfirstlane_b32 s14, v1
	s_mul_i32 s15, s12, s19
	s_mul_hi_u32 s21, s12, s14
	s_mul_i32 s20, s18, s14
	s_add_i32 s15, s21, s15
	s_add_i32 s15, s15, s20
	s_mul_i32 s23, s12, s14
	s_mul_i32 s21, s14, s15
	s_mul_hi_u32 s24, s14, s23
	s_mul_hi_u32 s20, s14, s15
	s_add_u32 s21, s24, s21
	s_addc_u32 s20, 0, s20
	s_mul_hi_u32 s25, s19, s23
	s_mul_i32 s23, s19, s23
	s_add_u32 s21, s21, s23
	s_mul_hi_u32 s24, s19, s15
	s_addc_u32 s20, s20, s25
	s_addc_u32 s21, s24, 0
	s_mul_i32 s15, s19, s15
	s_add_u32 s15, s20, s15
	s_addc_u32 s20, 0, s21
	s_add_u32 s21, s14, s15
	s_cselect_b64 s[14:15], -1, 0
	s_cmp_lg_u64 s[14:15], 0
	s_addc_u32 s19, s19, s20
	s_mul_i32 s14, s12, s19
	s_mul_hi_u32 s15, s12, s21
	s_add_i32 s14, s15, s14
	s_mul_i32 s18, s18, s21
	s_add_i32 s14, s14, s18
	s_mul_i32 s12, s12, s21
	s_mul_hi_u32 s18, s19, s12
	s_mul_i32 s20, s19, s12
	s_mul_i32 s24, s21, s14
	s_mul_hi_u32 s12, s21, s12
	s_mul_hi_u32 s23, s21, s14
	s_add_u32 s12, s12, s24
	s_addc_u32 s23, 0, s23
	s_add_u32 s12, s12, s20
	s_mul_hi_u32 s15, s19, s14
	s_addc_u32 s12, s23, s18
	s_addc_u32 s15, s15, 0
	s_mul_i32 s14, s19, s14
	s_add_u32 s12, s12, s14
	s_addc_u32 s18, 0, s15
	s_add_u32 s20, s21, s12
	s_cselect_b64 s[14:15], -1, 0
	s_cmp_lg_u64 s[14:15], 0
	s_addc_u32 s18, s19, s18
	s_ashr_i32 s14, s13, 31
	s_add_u32 s12, s9, s14
	s_mov_b32 s15, s14
	s_addc_u32 s13, s13, s14
	s_xor_b64 s[12:13], s[12:13], s[14:15]
	s_mul_i32 s21, s12, s18
	s_mul_hi_u32 s23, s12, s20
	s_mul_hi_u32 s19, s12, s18
	s_add_u32 s21, s23, s21
	s_addc_u32 s19, 0, s19
	s_mul_hi_u32 s24, s13, s20
	s_mul_i32 s20, s13, s20
	s_add_u32 s20, s21, s20
	s_mul_hi_u32 s23, s13, s18
	s_addc_u32 s19, s19, s24
	s_addc_u32 s20, s23, 0
	s_mul_i32 s18, s13, s18
	s_add_u32 s23, s19, s18
	s_addc_u32 s24, 0, s20
	s_mul_i32 s18, s10, s24
	s_mul_hi_u32 s19, s10, s23
	s_add_i32 s18, s19, s18
	s_mul_i32 s19, s11, s23
	s_add_i32 s25, s18, s19
	s_sub_i32 s20, s13, s25
	s_mul_i32 s18, s10, s23
	s_sub_u32 s12, s12, s18
	s_cselect_b64 s[18:19], -1, 0
	s_cmp_lg_u64 s[18:19], 0
	s_subb_u32 s26, s20, s11
	s_sub_u32 s27, s12, s10
	s_cselect_b64 s[20:21], -1, 0
	s_cmp_lg_u64 s[20:21], 0
	s_subb_u32 s20, s26, 0
	s_cmp_ge_u32 s20, s11
	s_cselect_b32 s21, -1, 0
	s_cmp_ge_u32 s27, s10
	s_cselect_b32 s26, -1, 0
	s_cmp_eq_u32 s20, s11
	s_cselect_b32 s20, s26, s21
	s_add_u32 s21, s23, 1
	s_addc_u32 s26, s24, 0
	s_add_u32 s27, s23, 2
	s_addc_u32 s28, s24, 0
	s_cmp_lg_u32 s20, 0
	s_cselect_b32 s20, s27, s21
	s_cselect_b32 s21, s28, s26
	s_cmp_lg_u64 s[18:19], 0
	s_subb_u32 s13, s13, s25
	s_cmp_ge_u32 s13, s11
	s_cselect_b32 s18, -1, 0
	s_cmp_ge_u32 s12, s10
	s_cselect_b32 s10, -1, 0
	s_cmp_eq_u32 s13, s11
	s_cselect_b32 s10, s10, s18
	s_cmp_lg_u32 s10, 0
	s_cselect_b32 s11, s21, s24
	s_cselect_b32 s10, s20, s23
	s_xor_b64 s[12:13], s[14:15], 0
	s_xor_b64 s[10:11], s[10:11], s[12:13]
	s_sub_u32 s10, s10, s12
	s_load_dwordx4 s[12:15], s[4:5], 0x44
	s_cbranch_execnz .LBB12_3
.LBB12_2:
	v_cvt_f32_u32_e32 v1, s22
	s_sub_i32 s10, 0, s22
	v_rcp_iflag_f32_e32 v1, v1
	v_mul_f32_e32 v1, 0x4f7ffffe, v1
	v_cvt_u32_f32_e32 v1, v1
	v_readfirstlane_b32 s11, v1
	s_mul_i32 s10, s10, s11
	s_mul_hi_u32 s10, s11, s10
	s_add_i32 s11, s11, s10
	s_mul_hi_u32 s10, s9, s11
	s_waitcnt lgkmcnt(0)
	s_mul_i32 s15, s10, s22
	s_sub_i32 s9, s9, s15
	s_add_i32 s11, s10, 1
	s_sub_i32 s15, s9, s22
	s_cmp_ge_u32 s9, s22
	s_cselect_b32 s10, s11, s10
	s_cselect_b32 s9, s15, s9
	s_add_i32 s11, s10, 1
	s_cmp_ge_u32 s9, s22
	s_cselect_b32 s10, s11, s10
.LBB12_3:
	s_add_i32 s9, s6, 1
	s_mul_hi_i32 s21, s3, s9
	s_mov_b32 s20, 0
	s_cmp_lg_u64 s[20:21], 0
	s_mul_i32 s9, s3, s9
	s_cbranch_scc0 .LBB12_21
; %bb.4:
	s_add_u32 s16, s22, 0
	s_addc_u32 s17, 0, 0
	s_xor_b64 s[18:19], s[16:17], 0
	v_cvt_f32_u32_e32 v1, s18
	v_cvt_f32_u32_e32 v2, s19
	s_sub_u32 s11, 0, s18
	s_waitcnt lgkmcnt(0)
	s_subb_u32 s15, 0, s19
	v_madmk_f32 v1, v2, 0x4f800000, v1
	v_rcp_f32_e32 v1, v1
	v_mul_f32_e32 v1, 0x5f7ffffc, v1
	v_mul_f32_e32 v2, 0x2f800000, v1
	v_trunc_f32_e32 v2, v2
	v_madmk_f32 v1, v2, 0xcf800000, v1
	v_cvt_u32_f32_e32 v2, v2
	v_cvt_u32_f32_e32 v1, v1
	v_readfirstlane_b32 s20, v2
	v_readfirstlane_b32 s23, v1
	s_mul_i32 s24, s11, s20
	s_mul_hi_u32 s26, s11, s23
	s_mul_i32 s25, s15, s23
	s_add_i32 s24, s26, s24
	s_add_i32 s24, s24, s25
	s_mul_i32 s27, s11, s23
	s_mul_i32 s26, s23, s24
	s_mul_hi_u32 s28, s23, s27
	s_mul_hi_u32 s25, s23, s24
	s_add_u32 s26, s28, s26
	s_addc_u32 s25, 0, s25
	s_mul_hi_u32 s29, s20, s27
	s_mul_i32 s27, s20, s27
	s_add_u32 s26, s26, s27
	s_mul_hi_u32 s28, s20, s24
	s_addc_u32 s25, s25, s29
	s_addc_u32 s26, s28, 0
	s_mul_i32 s24, s20, s24
	s_add_u32 s24, s25, s24
	s_addc_u32 s26, 0, s26
	s_add_u32 s23, s23, s24
	s_cselect_b64 s[24:25], -1, 0
	s_cmp_lg_u64 s[24:25], 0
	s_addc_u32 s20, s20, s26
	s_mul_i32 s24, s11, s20
	s_mul_hi_u32 s25, s11, s23
	s_add_i32 s24, s25, s24
	s_mul_i32 s15, s15, s23
	s_add_i32 s24, s24, s15
	s_mul_i32 s11, s11, s23
	s_mul_hi_u32 s25, s20, s11
	s_mul_i32 s26, s20, s11
	s_mul_i32 s28, s23, s24
	s_mul_hi_u32 s11, s23, s11
	s_mul_hi_u32 s27, s23, s24
	s_add_u32 s11, s11, s28
	s_addc_u32 s27, 0, s27
	s_add_u32 s11, s11, s26
	s_mul_hi_u32 s15, s20, s24
	s_addc_u32 s11, s27, s25
	s_addc_u32 s15, s15, 0
	s_mul_i32 s24, s20, s24
	s_add_u32 s11, s11, s24
	s_addc_u32 s15, 0, s15
	s_add_u32 s11, s23, s11
	s_cselect_b64 s[24:25], -1, 0
	s_cmp_lg_u64 s[24:25], 0
	s_addc_u32 s15, s20, s15
	s_ashr_i32 s24, s21, 31
	s_add_u32 s20, s9, s24
	s_mov_b32 s25, s24
	s_addc_u32 s21, s21, s24
	s_xor_b64 s[20:21], s[20:21], s[24:25]
	s_mul_i32 s26, s20, s15
	s_mul_hi_u32 s27, s20, s11
	s_mul_hi_u32 s23, s20, s15
	s_add_u32 s26, s27, s26
	s_addc_u32 s23, 0, s23
	s_mul_hi_u32 s28, s21, s11
	s_mul_i32 s11, s21, s11
	s_add_u32 s11, s26, s11
	s_mul_hi_u32 s27, s21, s15
	s_addc_u32 s11, s23, s28
	s_addc_u32 s23, s27, 0
	s_mul_i32 s15, s21, s15
	s_add_u32 s11, s11, s15
	s_addc_u32 s15, 0, s23
	s_mul_i32 s23, s18, s15
	s_mul_hi_u32 s26, s18, s11
	s_add_i32 s23, s26, s23
	s_mul_i32 s26, s19, s11
	s_add_i32 s23, s23, s26
	s_sub_i32 s28, s21, s23
	s_mul_i32 s26, s18, s11
	s_sub_u32 s20, s20, s26
	s_cselect_b64 s[26:27], -1, 0
	s_cmp_lg_u64 s[26:27], 0
	s_subb_u32 s30, s28, s19
	s_sub_u32 s31, s20, s18
	s_cselect_b64 s[28:29], -1, 0
	s_cmp_lg_u64 s[28:29], 0
	s_subb_u32 s28, s30, 0
	s_cmp_ge_u32 s28, s19
	s_cselect_b32 s29, -1, 0
	s_cmp_ge_u32 s31, s18
	s_cselect_b32 s30, -1, 0
	s_cmp_eq_u32 s28, s19
	s_cselect_b32 s28, s30, s29
	s_add_u32 s29, s11, 1
	s_addc_u32 s30, s15, 0
	s_add_u32 s31, s11, 2
	s_addc_u32 s33, s15, 0
	s_cmp_lg_u32 s28, 0
	s_cselect_b32 s28, s31, s29
	s_cselect_b32 s29, s33, s30
	s_cmp_lg_u64 s[26:27], 0
	s_subb_u32 s21, s21, s23
	s_cmp_ge_u32 s21, s19
	s_cselect_b32 s23, -1, 0
	s_cmp_ge_u32 s20, s18
	s_cselect_b32 s18, -1, 0
	s_cmp_eq_u32 s21, s19
	s_cselect_b32 s18, s18, s23
	s_cmp_lg_u32 s18, 0
	s_cselect_b32 s19, s29, s15
	s_cselect_b32 s18, s28, s11
	s_xor_b64 s[20:21], s[24:25], 0
	s_xor_b64 s[18:19], s[18:19], s[20:21]
	s_sub_u32 s18, s18, s20
	s_cbranch_execnz .LBB12_6
.LBB12_5:
	v_cvt_f32_u32_e32 v1, s22
	s_sub_i32 s11, 0, s22
	v_rcp_iflag_f32_e32 v1, v1
	v_mul_f32_e32 v1, 0x4f7ffffe, v1
	v_cvt_u32_f32_e32 v1, v1
	s_waitcnt lgkmcnt(0)
	v_readfirstlane_b32 s15, v1
	s_mul_i32 s11, s11, s15
	s_mul_hi_u32 s11, s15, s11
	s_add_i32 s15, s15, s11
	s_mul_hi_u32 s11, s9, s15
	s_mul_i32 s16, s11, s22
	s_sub_i32 s9, s9, s16
	s_add_i32 s15, s11, 1
	s_sub_i32 s16, s9, s22
	s_cmp_ge_u32 s9, s22
	s_cselect_b32 s11, s15, s11
	s_cselect_b32 s9, s16, s9
	s_add_i32 s15, s11, 1
	s_cmp_ge_u32 s9, s22
	s_cselect_b32 s18, s15, s11
.LBB12_6:
	s_cmp_eq_u32 s10, s18
	s_waitcnt lgkmcnt(0)
	s_mul_hi_u32 s9, s10, s12
	s_cselect_b64 s[16:17], -1, 0
	s_add_i32 s9, s9, s10
	s_lshr_b32 s11, s9, s13
	s_mul_i32 s9, s11, s14
	s_cmp_eq_u32 s9, s10
	s_mul_hi_u32 s9, s18, s12
	s_cselect_b64 s[20:21], -1, 0
	s_add_i32 s9, s9, s18
	s_lshr_b32 s9, s9, s13
	s_cmp_eq_u32 s11, s9
	s_mul_i32 s9, s9, s14
	s_cselect_b64 s[24:25], -1, 0
	s_cmp_lg_u32 s9, s18
	s_cselect_b64 s[18:19], -1, 0
	s_and_b64 s[18:19], s[24:25], s[18:19]
	s_or_b64 s[16:17], s[16:17], s[20:21]
	s_or_b64 s[16:17], s[16:17], s[18:19]
	s_and_b64 vcc, exec, s[16:17]
	s_cbranch_vccnz .LBB12_23
; %bb.7:
	s_load_dwordx8 s[24:31], s[4:5], 0x20
	s_load_dword s15, s[4:5], 0x40
	s_waitcnt lgkmcnt(0)
	s_mul_hi_u32 s9, s10, s24
	s_add_i32 s9, s9, s10
	s_lshr_b32 s9, s9, s25
	s_mul_i32 s16, s9, s26
	s_sub_i32 s16, s10, s16
	s_mul_hi_u32 s17, s16, s27
	s_add_i32 s17, s16, s17
	s_lshr_b32 s24, s17, s28
	s_mul_i32 s17, s24, s29
	s_sub_i32 s16, s16, s17
	;; [unrolled: 5-line block ×3, first 2 shown]
	s_mul_hi_u32 s16, s15, s12
	s_add_i32 s15, s15, s16
	s_lshr_b32 s25, s15, s13
	s_lshl_b32 s15, s25, 1
	s_add_i32 s15, s15, s7
	s_cmp_lt_i32 s15, s0
	s_cselect_b64 s[16:17], -1, 0
	s_add_i32 s15, s23, s8
	s_cmp_lt_i32 s15, s2
	s_cselect_b64 s[18:19], -1, 0
	s_and_b64 s[16:17], s[16:17], s[18:19]
	s_andn2_b64 vcc, exec, s[16:17]
	s_cbranch_vccnz .LBB12_23
; %bb.8:
	s_load_dwordx4 s[16:19], s[4:5], 0x0
	s_mov_b32 s4, 0
	s_lshl_b32 s20, s22, 3
	s_mov_b32 s21, s4
	s_add_i32 s15, s7, s8
	s_lshl_b64 s[20:21], s[20:21], 2
	s_waitcnt lgkmcnt(0)
	s_add_u32 s20, s18, s20
	s_mul_i32 s0, s9, s0
	s_addc_u32 s21, s19, s21
	s_add_i32 s0, s0, s7
	s_mul_i32 s0, s0, s1
	s_mul_i32 s24, s24, s2
	s_add_i32 s0, s0, s8
	s_add_i32 s0, s0, s24
	s_mul_i32 s2, s1, s25
	s_add_i32 s0, s0, s23
	s_lshl_b32 s2, s2, 7
	s_lshl_b32 s0, s0, 6
	s_add_i32 s2, s2, s0
	v_or_b32_e32 v1, s2, v0
	v_ashrrev_i32_e32 v2, 31, v1
	v_lshlrev_b64 v[1:2], 2, v[1:2]
	v_mov_b32_e32 v3, s17
	v_add_co_u32_e32 v1, vcc, s16, v1
	v_addc_co_u32_e32 v2, vcc, v3, v2, vcc
	global_load_dword v3, v[1:2], off
	v_cvt_f32_u32_e32 v4, s22
	s_lshl_b32 s0, s6, 1
	s_add_i32 s0, s0, s15
	s_ashr_i32 s1, s0, 31
	s_lshl_b64 s[0:1], s[0:1], 3
	v_rcp_iflag_f32_e32 v4, v4
	s_add_u32 s0, s18, s0
	s_addc_u32 s1, s19, s1
	s_load_dwordx2 s[0:1], s[0:1], 0x0
	v_mul_f32_e32 v4, 0x4f7ffffe, v4
	v_cvt_u32_f32_e32 v4, v4
	s_add_i32 s24, s6, -1
	v_lshl_or_b32 v0, s15, 6, v0
	s_waitcnt lgkmcnt(0)
	v_mov_b32_e32 v6, s1
	v_mov_b32_e32 v7, s0
	s_mov_b32 s2, 0x3fb8aa3b
	s_mov_b32 s16, 0xc2ce8ed0
	;; [unrolled: 1-line block ×4, first 2 shown]
	v_mov_b32_e32 v5, 0x7f800000
	s_mul_hi_i32 s5, s24, s3
	s_cmp_lg_u64 s[4:5], 0
	s_mul_i32 s8, s24, s3
	s_cbranch_scc0 .LBB12_19
.LBB12_9:
	s_add_u32 s0, s22, 0
	s_addc_u32 s1, 0, 0
	s_xor_b64 s[0:1], s[0:1], 0
	v_cvt_f32_u32_e32 v8, s0
	v_cvt_f32_u32_e32 v9, s1
	s_sub_u32 s9, 0, s0
	s_subb_u32 s25, 0, s1
	v_mac_f32_e32 v8, 0x4f800000, v9
	v_rcp_f32_e32 v8, v8
	v_mul_f32_e32 v8, 0x5f7ffffc, v8
	v_mul_f32_e32 v9, 0x2f800000, v8
	v_trunc_f32_e32 v9, v9
	v_mac_f32_e32 v8, 0xcf800000, v9
	v_cvt_u32_f32_e32 v9, v9
	v_cvt_u32_f32_e32 v8, v8
	v_readfirstlane_b32 s26, v9
	v_readfirstlane_b32 s6, v8
	s_mul_i32 s7, s9, s26
	s_mul_hi_u32 s28, s9, s6
	s_mul_i32 s27, s25, s6
	s_add_i32 s7, s28, s7
	s_mul_i32 s29, s9, s6
	s_add_i32 s7, s7, s27
	s_mul_i32 s28, s6, s7
	s_mul_hi_u32 s30, s6, s29
	s_mul_hi_u32 s27, s6, s7
	s_add_u32 s28, s30, s28
	s_addc_u32 s27, 0, s27
	s_mul_hi_u32 s31, s26, s29
	s_mul_i32 s29, s26, s29
	s_add_u32 s28, s28, s29
	s_mul_hi_u32 s30, s26, s7
	s_addc_u32 s27, s27, s31
	s_addc_u32 s28, s30, 0
	s_mul_i32 s7, s26, s7
	s_add_u32 s7, s27, s7
	s_addc_u32 s27, 0, s28
	s_add_u32 s28, s6, s7
	s_cselect_b64 s[6:7], -1, 0
	s_cmp_lg_u64 s[6:7], 0
	s_addc_u32 s26, s26, s27
	s_mul_i32 s6, s9, s26
	s_mul_hi_u32 s7, s9, s28
	s_add_i32 s6, s7, s6
	s_mul_i32 s25, s25, s28
	s_add_i32 s6, s6, s25
	s_mul_i32 s9, s9, s28
	s_mul_hi_u32 s25, s26, s9
	s_mul_i32 s27, s26, s9
	s_mul_i32 s30, s28, s6
	s_mul_hi_u32 s9, s28, s9
	s_mul_hi_u32 s29, s28, s6
	s_add_u32 s9, s9, s30
	s_addc_u32 s29, 0, s29
	s_add_u32 s9, s9, s27
	s_mul_hi_u32 s7, s26, s6
	s_addc_u32 s9, s29, s25
	s_addc_u32 s7, s7, 0
	s_mul_i32 s6, s26, s6
	s_add_u32 s6, s9, s6
	s_addc_u32 s9, 0, s7
	s_add_u32 s25, s28, s6
	s_cselect_b64 s[6:7], -1, 0
	s_cmp_lg_u64 s[6:7], 0
	s_addc_u32 s9, s26, s9
	s_ashr_i32 s6, s5, 31
	s_add_u32 s26, s8, s6
	s_mov_b32 s7, s6
	s_addc_u32 s27, s5, s6
	s_xor_b64 s[26:27], s[26:27], s[6:7]
	s_mul_i32 s28, s26, s9
	s_mul_hi_u32 s29, s26, s25
	s_mul_hi_u32 s5, s26, s9
	s_add_u32 s28, s29, s28
	s_addc_u32 s5, 0, s5
	s_mul_hi_u32 s30, s27, s25
	s_mul_i32 s25, s27, s25
	s_add_u32 s25, s28, s25
	s_mul_hi_u32 s29, s27, s9
	s_addc_u32 s5, s5, s30
	s_addc_u32 s25, s29, 0
	s_mul_i32 s9, s27, s9
	s_add_u32 s5, s5, s9
	s_addc_u32 s9, 0, s25
	s_mul_i32 s25, s0, s9
	s_mul_hi_u32 s28, s0, s5
	s_add_i32 s25, s28, s25
	s_mul_i32 s28, s1, s5
	s_add_i32 s25, s25, s28
	s_sub_i32 s30, s27, s25
	s_mul_i32 s28, s0, s5
	s_sub_u32 s26, s26, s28
	s_cselect_b64 s[28:29], -1, 0
	s_cmp_lg_u64 s[28:29], 0
	s_subb_u32 s33, s30, s1
	s_sub_u32 s34, s26, s0
	s_cselect_b64 s[30:31], -1, 0
	s_cmp_lg_u64 s[30:31], 0
	s_subb_u32 s30, s33, 0
	s_cmp_ge_u32 s30, s1
	s_cselect_b32 s31, -1, 0
	s_cmp_ge_u32 s34, s0
	s_cselect_b32 s33, -1, 0
	s_cmp_eq_u32 s30, s1
	s_cselect_b32 s30, s33, s31
	s_add_u32 s31, s5, 1
	s_addc_u32 s33, s9, 0
	s_add_u32 s34, s5, 2
	s_addc_u32 s35, s9, 0
	s_cmp_lg_u32 s30, 0
	s_cselect_b32 s30, s34, s31
	s_cselect_b32 s31, s35, s33
	s_cmp_lg_u64 s[28:29], 0
	s_subb_u32 s25, s27, s25
	s_cmp_ge_u32 s25, s1
	s_cselect_b32 s27, -1, 0
	s_cmp_ge_u32 s26, s0
	s_cselect_b32 s0, -1, 0
	s_cmp_eq_u32 s25, s1
	s_cselect_b32 s0, s0, s27
	s_cmp_lg_u32 s0, 0
	s_cselect_b32 s1, s31, s9
	s_cselect_b32 s0, s30, s5
	s_xor_b64 s[6:7], s[6:7], 0
	s_xor_b64 s[0:1], s[0:1], s[6:7]
	s_sub_u32 s6, s0, s6
	s_cbranch_execnz .LBB12_11
.LBB12_10:
	s_sub_i32 s0, 0, s22
	v_readfirstlane_b32 s1, v4
	s_mul_i32 s0, s0, s1
	s_mul_hi_u32 s0, s1, s0
	s_add_i32 s1, s1, s0
	s_mul_hi_u32 s0, s8, s1
	s_mul_i32 s5, s0, s22
	s_sub_i32 s5, s8, s5
	s_add_i32 s1, s0, 1
	s_sub_i32 s6, s5, s22
	s_cmp_ge_u32 s5, s22
	s_cselect_b32 s0, s1, s0
	s_cselect_b32 s5, s6, s5
	s_add_i32 s1, s0, 1
	s_cmp_ge_u32 s5, s22
	s_cselect_b32 s6, s1, s0
.LBB12_11:
	s_cmp_lg_u32 s10, s6
	s_mov_b64 s[8:9], -1
                                        ; implicit-def: $sgpr0_sgpr1
                                        ; implicit-def: $vgpr10
                                        ; implicit-def: $vgpr8
                                        ; implicit-def: $vgpr9
                                        ; implicit-def: $sgpr5
                                        ; implicit-def: $sgpr7
	s_cbranch_scc1 .LBB12_14
; %bb.12:
	s_andn2_b64 vcc, exec, s[8:9]
	s_cbranch_vccz .LBB12_17
.LBB12_13:
	s_andn2_b64 vcc, exec, s[0:1]
	s_cbranch_vccnz .LBB12_18
	s_branch .LBB12_22
.LBB12_14:
	s_add_i32 s0, s24, s22
	s_lshl_b32 s0, s0, 1
	s_add_i32 s0, s0, s15
	s_mov_b32 s1, s4
	s_lshl_b64 s[0:1], s[0:1], 3
	s_add_u32 s8, s18, s0
	s_mul_hi_u32 s0, s6, s12
	s_addc_u32 s9, s19, s1
	s_add_i32 s0, s0, s6
	s_lshr_b32 s5, s0, s13
	s_mul_i32 s0, s5, s14
	s_cmp_eq_u32 s0, s6
	s_cselect_b64 s[0:1], -1, 0
	s_cmp_lt_u32 s5, s11
	s_cselect_b64 s[26:27], -1, 0
	s_or_b64 s[26:27], s[26:27], s[0:1]
	s_mov_b64 s[0:1], -1
	s_and_b64 vcc, exec, s[26:27]
	s_mov_b32 s5, s24
	s_mov_b32 s7, s10
	s_cbranch_vccnz .LBB12_16
; %bb.15:
	s_add_i32 s5, s24, -1
	s_mov_b64 s[0:1], 0
	s_mov_b32 s7, s6
.LBB12_16:
	v_lshl_add_u32 v8, s24, 7, v0
	v_ashrrev_i32_e32 v9, 31, v8
	v_lshlrev_b64 v[8:9], 2, v[8:9]
	v_mov_b32_e32 v10, s21
	v_add_co_u32_e32 v8, vcc, s20, v8
	v_addc_co_u32_e32 v9, vcc, v10, v9, vcc
	global_load_dword v10, v[8:9], off
	s_load_dwordx2 s[8:9], s[8:9], 0x0
	v_max_f32_e32 v8, v7, v7
	s_waitcnt lgkmcnt(0)
	v_max_f32_e64 v9, s8, s8
	v_max_f32_e32 v8, v8, v9
	v_sub_f32_e32 v9, v7, v8
	v_sub_f32_e32 v11, s8, v8
	v_mul_f32_e32 v12, 0x3fb8aa3b, v9
	v_mul_f32_e32 v13, 0x3fb8aa3b, v11
	v_fma_f32 v14, v9, s2, -v12
	v_rndne_f32_e32 v15, v12
	v_fma_f32 v16, v11, s2, -v13
	v_rndne_f32_e32 v17, v13
	v_fmac_f32_e32 v14, 0x32a5705f, v9
	v_sub_f32_e32 v12, v12, v15
	v_fmac_f32_e32 v16, 0x32a5705f, v11
	v_sub_f32_e32 v13, v13, v17
	v_add_f32_e32 v12, v12, v14
	v_cvt_i32_f32_e32 v15, v15
	v_add_f32_e32 v13, v13, v16
	v_exp_f32_e32 v12, v12
	v_cvt_i32_f32_e32 v17, v17
	v_exp_f32_e32 v13, v13
	v_cmp_ngt_f32_e32 vcc, s16, v9
	v_ldexp_f32 v12, v12, v15
	v_cndmask_b32_e32 v12, 0, v12, vcc
	v_ldexp_f32 v13, v13, v17
	v_cmp_ngt_f32_e32 vcc, s16, v11
	v_cndmask_b32_e32 v13, 0, v13, vcc
	v_cmp_nlt_f32_e32 vcc, s17, v9
	v_cndmask_b32_e32 v12, v5, v12, vcc
	v_cmp_nlt_f32_e32 vcc, s17, v11
	v_cndmask_b32_e32 v13, v5, v13, vcc
	v_cmp_le_f32_e32 vcc, s23, v9
	v_cndmask_b32_e32 v12, 0, v12, vcc
	v_cmp_le_f32_e32 vcc, s23, v11
	v_cndmask_b32_e32 v11, 0, v13, vcc
	v_mul_f32_e32 v9, s9, v11
	v_fmac_f32_e32 v9, v6, v12
	s_waitcnt vmcnt(0)
	v_mul_f32_e32 v10, v10, v11
	v_fmac_f32_e32 v10, v3, v12
	s_cbranch_execnz .LBB12_13
.LBB12_17:
	s_add_i32 s5, s24, -1
	s_mov_b32 s7, s10
	v_mov_b32_e32 v9, v6
	v_mov_b32_e32 v8, v7
	s_waitcnt vmcnt(0)
	v_mov_b32_e32 v10, v3
	s_cbranch_execz .LBB12_22
.LBB12_18:
	s_mov_b32 s10, s7
	s_mov_b32 s24, s5
	v_mov_b32_e32 v6, v9
	v_mov_b32_e32 v7, v8
	s_waitcnt vmcnt(0)
	v_mov_b32_e32 v3, v10
	s_mul_hi_i32 s5, s24, s3
	s_cmp_lg_u64 s[4:5], 0
	s_mul_i32 s8, s24, s3
	s_cbranch_scc1 .LBB12_9
.LBB12_19:
                                        ; implicit-def: $sgpr6_sgpr7
	s_branch .LBB12_10
.LBB12_20:
                                        ; implicit-def: $sgpr10_sgpr11
	s_load_dwordx4 s[12:15], s[4:5], 0x44
	s_branch .LBB12_2
.LBB12_21:
                                        ; implicit-def: $sgpr18_sgpr19
	s_branch .LBB12_5
.LBB12_22:
	v_div_scale_f32 v0, s[0:1], v9, v9, v10
	s_waitcnt vmcnt(0)
	v_div_scale_f32 v3, vcc, v10, v9, v10
	v_rcp_f32_e32 v4, v0
	v_fma_f32 v5, -v0, v4, 1.0
	v_fmac_f32_e32 v4, v5, v4
	v_mul_f32_e32 v5, v3, v4
	v_fma_f32 v6, -v0, v5, v3
	v_fmac_f32_e32 v5, v6, v4
	v_fma_f32 v0, -v0, v5, v3
	v_div_fmas_f32 v0, v0, v4, v5
	v_div_fixup_f32 v0, v0, v9, v10
	global_store_dword v[1:2], v0, off
.LBB12_23:
	s_endpgm
	.section	.rodata,"a",@progbits
	.p2align	6, 0x0
	.amdhsa_kernel _ZL33flash_attn_stream_k_fixup_generalILi64ELi2ELi1EEvPfPK15HIP_vector_typeIfLj2EEiiiiS1_IjLj3EES5_S5_S5_
		.amdhsa_group_segment_fixed_size 0
		.amdhsa_private_segment_fixed_size 0
		.amdhsa_kernarg_size 336
		.amdhsa_user_sgpr_count 6
		.amdhsa_user_sgpr_private_segment_buffer 1
		.amdhsa_user_sgpr_dispatch_ptr 0
		.amdhsa_user_sgpr_queue_ptr 0
		.amdhsa_user_sgpr_kernarg_segment_ptr 1
		.amdhsa_user_sgpr_dispatch_id 0
		.amdhsa_user_sgpr_flat_scratch_init 0
		.amdhsa_user_sgpr_private_segment_size 0
		.amdhsa_uses_dynamic_stack 0
		.amdhsa_system_sgpr_private_segment_wavefront_offset 0
		.amdhsa_system_sgpr_workgroup_id_x 1
		.amdhsa_system_sgpr_workgroup_id_y 1
		.amdhsa_system_sgpr_workgroup_id_z 1
		.amdhsa_system_sgpr_workgroup_info 0
		.amdhsa_system_vgpr_workitem_id 0
		.amdhsa_next_free_vgpr 18
		.amdhsa_next_free_sgpr 36
		.amdhsa_reserve_vcc 1
		.amdhsa_reserve_flat_scratch 0
		.amdhsa_float_round_mode_32 0
		.amdhsa_float_round_mode_16_64 0
		.amdhsa_float_denorm_mode_32 3
		.amdhsa_float_denorm_mode_16_64 3
		.amdhsa_dx10_clamp 1
		.amdhsa_ieee_mode 1
		.amdhsa_fp16_overflow 0
		.amdhsa_exception_fp_ieee_invalid_op 0
		.amdhsa_exception_fp_denorm_src 0
		.amdhsa_exception_fp_ieee_div_zero 0
		.amdhsa_exception_fp_ieee_overflow 0
		.amdhsa_exception_fp_ieee_underflow 0
		.amdhsa_exception_fp_ieee_inexact 0
		.amdhsa_exception_int_div_zero 0
	.end_amdhsa_kernel
	.section	.text._ZL33flash_attn_stream_k_fixup_generalILi64ELi2ELi1EEvPfPK15HIP_vector_typeIfLj2EEiiiiS1_IjLj3EES5_S5_S5_,"axG",@progbits,_ZL33flash_attn_stream_k_fixup_generalILi64ELi2ELi1EEvPfPK15HIP_vector_typeIfLj2EEiiiiS1_IjLj3EES5_S5_S5_,comdat
.Lfunc_end12:
	.size	_ZL33flash_attn_stream_k_fixup_generalILi64ELi2ELi1EEvPfPK15HIP_vector_typeIfLj2EEiiiiS1_IjLj3EES5_S5_S5_, .Lfunc_end12-_ZL33flash_attn_stream_k_fixup_generalILi64ELi2ELi1EEvPfPK15HIP_vector_typeIfLj2EEiiiiS1_IjLj3EES5_S5_S5_
                                        ; -- End function
	.set _ZL33flash_attn_stream_k_fixup_generalILi64ELi2ELi1EEvPfPK15HIP_vector_typeIfLj2EEiiiiS1_IjLj3EES5_S5_S5_.num_vgpr, 18
	.set _ZL33flash_attn_stream_k_fixup_generalILi64ELi2ELi1EEvPfPK15HIP_vector_typeIfLj2EEiiiiS1_IjLj3EES5_S5_S5_.num_agpr, 0
	.set _ZL33flash_attn_stream_k_fixup_generalILi64ELi2ELi1EEvPfPK15HIP_vector_typeIfLj2EEiiiiS1_IjLj3EES5_S5_S5_.numbered_sgpr, 36
	.set _ZL33flash_attn_stream_k_fixup_generalILi64ELi2ELi1EEvPfPK15HIP_vector_typeIfLj2EEiiiiS1_IjLj3EES5_S5_S5_.num_named_barrier, 0
	.set _ZL33flash_attn_stream_k_fixup_generalILi64ELi2ELi1EEvPfPK15HIP_vector_typeIfLj2EEiiiiS1_IjLj3EES5_S5_S5_.private_seg_size, 0
	.set _ZL33flash_attn_stream_k_fixup_generalILi64ELi2ELi1EEvPfPK15HIP_vector_typeIfLj2EEiiiiS1_IjLj3EES5_S5_S5_.uses_vcc, 1
	.set _ZL33flash_attn_stream_k_fixup_generalILi64ELi2ELi1EEvPfPK15HIP_vector_typeIfLj2EEiiiiS1_IjLj3EES5_S5_S5_.uses_flat_scratch, 0
	.set _ZL33flash_attn_stream_k_fixup_generalILi64ELi2ELi1EEvPfPK15HIP_vector_typeIfLj2EEiiiiS1_IjLj3EES5_S5_S5_.has_dyn_sized_stack, 0
	.set _ZL33flash_attn_stream_k_fixup_generalILi64ELi2ELi1EEvPfPK15HIP_vector_typeIfLj2EEiiiiS1_IjLj3EES5_S5_S5_.has_recursion, 0
	.set _ZL33flash_attn_stream_k_fixup_generalILi64ELi2ELi1EEvPfPK15HIP_vector_typeIfLj2EEiiiiS1_IjLj3EES5_S5_S5_.has_indirect_call, 0
	.section	.AMDGPU.csdata,"",@progbits
; Kernel info:
; codeLenInByte = 2932
; TotalNumSgprs: 40
; NumVgprs: 18
; ScratchSize: 0
; MemoryBound: 0
; FloatMode: 240
; IeeeMode: 1
; LDSByteSize: 0 bytes/workgroup (compile time only)
; SGPRBlocks: 4
; VGPRBlocks: 4
; NumSGPRsForWavesPerEU: 40
; NumVGPRsForWavesPerEU: 18
; Occupancy: 10
; WaveLimiterHint : 0
; COMPUTE_PGM_RSRC2:SCRATCH_EN: 0
; COMPUTE_PGM_RSRC2:USER_SGPR: 6
; COMPUTE_PGM_RSRC2:TRAP_HANDLER: 0
; COMPUTE_PGM_RSRC2:TGID_X_EN: 1
; COMPUTE_PGM_RSRC2:TGID_Y_EN: 1
; COMPUTE_PGM_RSRC2:TGID_Z_EN: 1
; COMPUTE_PGM_RSRC2:TIDIG_COMP_CNT: 0
	.section	.text._ZL18flash_attn_ext_vecILi64ELi2EL9ggml_type2ELS0_8ELb1EEvPKcS2_S2_S2_S2_PKiPfP15HIP_vector_typeIfLj2EEffffjfiS6_IjLj3EEiiiiiiiiiiiliiliiiiil,"axG",@progbits,_ZL18flash_attn_ext_vecILi64ELi2EL9ggml_type2ELS0_8ELb1EEvPKcS2_S2_S2_S2_PKiPfP15HIP_vector_typeIfLj2EEffffjfiS6_IjLj3EEiiiiiiiiiiiliiliiiiil,comdat
	.globl	_ZL18flash_attn_ext_vecILi64ELi2EL9ggml_type2ELS0_8ELb1EEvPKcS2_S2_S2_S2_PKiPfP15HIP_vector_typeIfLj2EEffffjfiS6_IjLj3EEiiiiiiiiiiiliiliiiiil ; -- Begin function _ZL18flash_attn_ext_vecILi64ELi2EL9ggml_type2ELS0_8ELb1EEvPKcS2_S2_S2_S2_PKiPfP15HIP_vector_typeIfLj2EEffffjfiS6_IjLj3EEiiiiiiiiiiiliiliiiiil
	.p2align	8
	.type	_ZL18flash_attn_ext_vecILi64ELi2EL9ggml_type2ELS0_8ELb1EEvPKcS2_S2_S2_S2_PKiPfP15HIP_vector_typeIfLj2EEffffjfiS6_IjLj3EEiiiiiiiiiiiliiliiiiil,@function
_ZL18flash_attn_ext_vecILi64ELi2EL9ggml_type2ELS0_8ELb1EEvPKcS2_S2_S2_S2_PKiPfP15HIP_vector_typeIfLj2EEffffjfiS6_IjLj3EEiiiiiiiiiiiliiliiiiil: ; @_ZL18flash_attn_ext_vecILi64ELi2EL9ggml_type2ELS0_8ELb1EEvPKcS2_S2_S2_S2_PKiPfP15HIP_vector_typeIfLj2EEffffjfiS6_IjLj3EEiiiiiiiiiiiliiliiiiil
; %bb.0:
	s_add_u32 s0, s0, s7
	s_addc_u32 s1, s1, 0
	s_add_u32 s8, s4, 0xd0
	s_addc_u32 s9, s5, 0
	s_getpc_b64 s[4:5]
	s_add_u32 s4, s4, _ZL14no_device_codePKciS0_iS0_@rel32@lo+4
	s_addc_u32 s5, s5, _ZL14no_device_codePKciS0_iS0_@rel32@hi+12
	s_mov_b32 s32, 0
	s_swappc_b64 s[30:31], s[4:5]
	.section	.rodata,"a",@progbits
	.p2align	6, 0x0
	.amdhsa_kernel _ZL18flash_attn_ext_vecILi64ELi2EL9ggml_type2ELS0_8ELb1EEvPKcS2_S2_S2_S2_PKiPfP15HIP_vector_typeIfLj2EEffffjfiS6_IjLj3EEiiiiiiiiiiiliiliiiiil
		.amdhsa_group_segment_fixed_size 0
		.amdhsa_private_segment_fixed_size 16
		.amdhsa_kernarg_size 464
		.amdhsa_user_sgpr_count 6
		.amdhsa_user_sgpr_private_segment_buffer 1
		.amdhsa_user_sgpr_dispatch_ptr 0
		.amdhsa_user_sgpr_queue_ptr 0
		.amdhsa_user_sgpr_kernarg_segment_ptr 1
		.amdhsa_user_sgpr_dispatch_id 0
		.amdhsa_user_sgpr_flat_scratch_init 0
		.amdhsa_user_sgpr_private_segment_size 0
		.amdhsa_uses_dynamic_stack 0
		.amdhsa_system_sgpr_private_segment_wavefront_offset 1
		.amdhsa_system_sgpr_workgroup_id_x 1
		.amdhsa_system_sgpr_workgroup_id_y 0
		.amdhsa_system_sgpr_workgroup_id_z 0
		.amdhsa_system_sgpr_workgroup_info 0
		.amdhsa_system_vgpr_workitem_id 0
		.amdhsa_next_free_vgpr 41
		.amdhsa_next_free_sgpr 34
		.amdhsa_reserve_vcc 1
		.amdhsa_reserve_flat_scratch 0
		.amdhsa_float_round_mode_32 0
		.amdhsa_float_round_mode_16_64 0
		.amdhsa_float_denorm_mode_32 3
		.amdhsa_float_denorm_mode_16_64 3
		.amdhsa_dx10_clamp 1
		.amdhsa_ieee_mode 1
		.amdhsa_fp16_overflow 0
		.amdhsa_exception_fp_ieee_invalid_op 0
		.amdhsa_exception_fp_denorm_src 0
		.amdhsa_exception_fp_ieee_div_zero 0
		.amdhsa_exception_fp_ieee_overflow 0
		.amdhsa_exception_fp_ieee_underflow 0
		.amdhsa_exception_fp_ieee_inexact 0
		.amdhsa_exception_int_div_zero 0
	.end_amdhsa_kernel
	.section	.text._ZL18flash_attn_ext_vecILi64ELi2EL9ggml_type2ELS0_8ELb1EEvPKcS2_S2_S2_S2_PKiPfP15HIP_vector_typeIfLj2EEffffjfiS6_IjLj3EEiiiiiiiiiiiliiliiiiil,"axG",@progbits,_ZL18flash_attn_ext_vecILi64ELi2EL9ggml_type2ELS0_8ELb1EEvPKcS2_S2_S2_S2_PKiPfP15HIP_vector_typeIfLj2EEffffjfiS6_IjLj3EEiiiiiiiiiiiliiliiiiil,comdat
.Lfunc_end13:
	.size	_ZL18flash_attn_ext_vecILi64ELi2EL9ggml_type2ELS0_8ELb1EEvPKcS2_S2_S2_S2_PKiPfP15HIP_vector_typeIfLj2EEffffjfiS6_IjLj3EEiiiiiiiiiiiliiliiiiil, .Lfunc_end13-_ZL18flash_attn_ext_vecILi64ELi2EL9ggml_type2ELS0_8ELb1EEvPKcS2_S2_S2_S2_PKiPfP15HIP_vector_typeIfLj2EEffffjfiS6_IjLj3EEiiiiiiiiiiiliiliiiiil
                                        ; -- End function
	.set _ZL18flash_attn_ext_vecILi64ELi2EL9ggml_type2ELS0_8ELb1EEvPKcS2_S2_S2_S2_PKiPfP15HIP_vector_typeIfLj2EEffffjfiS6_IjLj3EEiiiiiiiiiiiliiliiiiil.num_vgpr, max(0, .L_ZL14no_device_codePKciS0_iS0_.num_vgpr)
	.set _ZL18flash_attn_ext_vecILi64ELi2EL9ggml_type2ELS0_8ELb1EEvPKcS2_S2_S2_S2_PKiPfP15HIP_vector_typeIfLj2EEffffjfiS6_IjLj3EEiiiiiiiiiiiliiliiiiil.num_agpr, max(0, .L_ZL14no_device_codePKciS0_iS0_.num_agpr)
	.set _ZL18flash_attn_ext_vecILi64ELi2EL9ggml_type2ELS0_8ELb1EEvPKcS2_S2_S2_S2_PKiPfP15HIP_vector_typeIfLj2EEffffjfiS6_IjLj3EEiiiiiiiiiiiliiliiiiil.numbered_sgpr, max(33, .L_ZL14no_device_codePKciS0_iS0_.numbered_sgpr)
	.set _ZL18flash_attn_ext_vecILi64ELi2EL9ggml_type2ELS0_8ELb1EEvPKcS2_S2_S2_S2_PKiPfP15HIP_vector_typeIfLj2EEffffjfiS6_IjLj3EEiiiiiiiiiiiliiliiiiil.num_named_barrier, max(0, .L_ZL14no_device_codePKciS0_iS0_.num_named_barrier)
	.set _ZL18flash_attn_ext_vecILi64ELi2EL9ggml_type2ELS0_8ELb1EEvPKcS2_S2_S2_S2_PKiPfP15HIP_vector_typeIfLj2EEffffjfiS6_IjLj3EEiiiiiiiiiiiliiliiiiil.private_seg_size, 0+max(.L_ZL14no_device_codePKciS0_iS0_.private_seg_size)
	.set _ZL18flash_attn_ext_vecILi64ELi2EL9ggml_type2ELS0_8ELb1EEvPKcS2_S2_S2_S2_PKiPfP15HIP_vector_typeIfLj2EEffffjfiS6_IjLj3EEiiiiiiiiiiiliiliiiiil.uses_vcc, or(1, .L_ZL14no_device_codePKciS0_iS0_.uses_vcc)
	.set _ZL18flash_attn_ext_vecILi64ELi2EL9ggml_type2ELS0_8ELb1EEvPKcS2_S2_S2_S2_PKiPfP15HIP_vector_typeIfLj2EEffffjfiS6_IjLj3EEiiiiiiiiiiiliiliiiiil.uses_flat_scratch, or(0, .L_ZL14no_device_codePKciS0_iS0_.uses_flat_scratch)
	.set _ZL18flash_attn_ext_vecILi64ELi2EL9ggml_type2ELS0_8ELb1EEvPKcS2_S2_S2_S2_PKiPfP15HIP_vector_typeIfLj2EEffffjfiS6_IjLj3EEiiiiiiiiiiiliiliiiiil.has_dyn_sized_stack, or(0, .L_ZL14no_device_codePKciS0_iS0_.has_dyn_sized_stack)
	.set _ZL18flash_attn_ext_vecILi64ELi2EL9ggml_type2ELS0_8ELb1EEvPKcS2_S2_S2_S2_PKiPfP15HIP_vector_typeIfLj2EEffffjfiS6_IjLj3EEiiiiiiiiiiiliiliiiiil.has_recursion, or(0, .L_ZL14no_device_codePKciS0_iS0_.has_recursion)
	.set _ZL18flash_attn_ext_vecILi64ELi2EL9ggml_type2ELS0_8ELb1EEvPKcS2_S2_S2_S2_PKiPfP15HIP_vector_typeIfLj2EEffffjfiS6_IjLj3EEiiiiiiiiiiiliiliiiiil.has_indirect_call, or(0, .L_ZL14no_device_codePKciS0_iS0_.has_indirect_call)
	.section	.AMDGPU.csdata,"",@progbits
; Kernel info:
; codeLenInByte = 48
; TotalNumSgprs: 38
; NumVgprs: 41
; ScratchSize: 16
; MemoryBound: 0
; FloatMode: 240
; IeeeMode: 1
; LDSByteSize: 0 bytes/workgroup (compile time only)
; SGPRBlocks: 4
; VGPRBlocks: 10
; NumSGPRsForWavesPerEU: 38
; NumVGPRsForWavesPerEU: 41
; Occupancy: 5
; WaveLimiterHint : 1
; COMPUTE_PGM_RSRC2:SCRATCH_EN: 1
; COMPUTE_PGM_RSRC2:USER_SGPR: 6
; COMPUTE_PGM_RSRC2:TRAP_HANDLER: 0
; COMPUTE_PGM_RSRC2:TGID_X_EN: 1
; COMPUTE_PGM_RSRC2:TGID_Y_EN: 0
; COMPUTE_PGM_RSRC2:TGID_Z_EN: 0
; COMPUTE_PGM_RSRC2:TIDIG_COMP_CNT: 0
	.section	.text._ZL18flash_attn_ext_vecILi128ELi1EL9ggml_type2ELS0_8ELb0EEvPKcS2_S2_S2_S2_PKiPfP15HIP_vector_typeIfLj2EEffffjfiS6_IjLj3EEiiiiiiiiiiiliiliiiiil,"axG",@progbits,_ZL18flash_attn_ext_vecILi128ELi1EL9ggml_type2ELS0_8ELb0EEvPKcS2_S2_S2_S2_PKiPfP15HIP_vector_typeIfLj2EEffffjfiS6_IjLj3EEiiiiiiiiiiiliiliiiiil,comdat
	.globl	_ZL18flash_attn_ext_vecILi128ELi1EL9ggml_type2ELS0_8ELb0EEvPKcS2_S2_S2_S2_PKiPfP15HIP_vector_typeIfLj2EEffffjfiS6_IjLj3EEiiiiiiiiiiiliiliiiiil ; -- Begin function _ZL18flash_attn_ext_vecILi128ELi1EL9ggml_type2ELS0_8ELb0EEvPKcS2_S2_S2_S2_PKiPfP15HIP_vector_typeIfLj2EEffffjfiS6_IjLj3EEiiiiiiiiiiiliiliiiiil
	.p2align	8
	.type	_ZL18flash_attn_ext_vecILi128ELi1EL9ggml_type2ELS0_8ELb0EEvPKcS2_S2_S2_S2_PKiPfP15HIP_vector_typeIfLj2EEffffjfiS6_IjLj3EEiiiiiiiiiiiliiliiiiil,@function
_ZL18flash_attn_ext_vecILi128ELi1EL9ggml_type2ELS0_8ELb0EEvPKcS2_S2_S2_S2_PKiPfP15HIP_vector_typeIfLj2EEffffjfiS6_IjLj3EEiiiiiiiiiiiliiliiiiil: ; @_ZL18flash_attn_ext_vecILi128ELi1EL9ggml_type2ELS0_8ELb0EEvPKcS2_S2_S2_S2_PKiPfP15HIP_vector_typeIfLj2EEffffjfiS6_IjLj3EEiiiiiiiiiiiliiliiiiil
; %bb.0:
	s_load_dwordx2 s[34:35], s[4:5], 0x64
	s_load_dwordx2 s[42:43], s[4:5], 0x80
	;; [unrolled: 1-line block ×3, first 2 shown]
	v_mov_b32_e32 v33, 1.0
	s_waitcnt lgkmcnt(0)
	v_cvt_f32_u32_e32 v2, s35
	s_sub_i32 s0, 0, s35
	v_rcp_iflag_f32_e32 v2, v2
	v_mul_f32_e32 v2, 0x4f7ffffe, v2
	v_cvt_u32_f32_e32 v2, v2
	v_readfirstlane_b32 s1, v2
	s_mul_i32 s0, s0, s1
	s_mul_hi_u32 s0, s1, s0
	s_add_i32 s1, s1, s0
	s_mul_hi_u32 s0, s8, s1
	s_mul_i32 s1, s0, s35
	s_sub_i32 s1, s8, s1
	s_add_i32 s2, s0, 1
	s_sub_i32 s3, s1, s35
	s_cmp_ge_u32 s1, s35
	s_cselect_b32 s0, s2, s0
	s_cselect_b32 s1, s3, s1
	s_add_i32 s2, s0, 1
	s_cmp_ge_u32 s1, s35
	s_cselect_b32 s33, s2, s0
	s_abs_i32 s0, s43
	v_cvt_f32_u32_e32 v2, s0
	s_mul_i32 s3, s33, s35
	s_sub_i32 s9, 0, s0
	s_sub_i32 s40, s8, s3
	v_rcp_iflag_f32_e32 v2, v2
	s_abs_i32 s2, s35
	s_xor_b32 s1, s35, s43
	s_ashr_i32 s1, s1, 31
	v_mul_f32_e32 v2, 0x4f7ffffe, v2
	v_cvt_u32_f32_e32 v2, v2
	v_readfirstlane_b32 s3, v2
	s_mul_i32 s9, s9, s3
	s_mul_hi_u32 s8, s3, s9
	s_add_i32 s3, s3, s8
	s_mul_hi_u32 s3, s2, s3
	s_mul_i32 s8, s3, s0
	s_sub_i32 s2, s2, s8
	s_add_i32 s9, s3, 1
	s_sub_i32 s8, s2, s0
	s_cmp_ge_u32 s2, s0
	s_cselect_b32 s3, s9, s3
	s_cselect_b32 s2, s8, s2
	s_add_i32 s8, s3, 1
	s_cmp_ge_u32 s2, s0
	s_cselect_b32 s0, s8, s3
	s_xor_b32 s0, s0, s1
	s_sub_i32 s36, s0, s1
	s_abs_i32 s44, s36
	s_abs_i32 s14, s14
	v_cvt_f32_u32_e32 v3, s44
	v_cvt_f32_u32_e32 v2, s14
	s_load_dwordx4 s[8:11], s[4:5], 0x40
	s_load_dword s0, s[4:5], 0x50
	s_sub_i32 s2, 0, s44
	v_rcp_iflag_f32_e32 v3, v3
	v_rcp_iflag_f32_e32 v2, v2
	s_sub_i32 s1, 0, s14
	s_abs_i32 s45, s40
	v_mul_f32_e32 v3, 0x4f7ffffe, v3
	v_mul_f32_e32 v2, 0x4f7ffffe, v2
	v_cvt_u32_f32_e32 v3, v3
	v_cvt_u32_f32_e32 v2, v2
	s_abs_i32 s43, s33
	v_readfirstlane_b32 s12, v3
	v_readfirstlane_b32 s13, v2
	s_mul_i32 s2, s2, s12
	s_mul_hi_u32 s2, s12, s2
	s_mul_i32 s1, s1, s13
	s_add_i32 s12, s12, s2
	s_mul_hi_u32 s1, s13, s1
	s_waitcnt lgkmcnt(0)
	v_cmp_le_f32_e64 s[2:3], s9, 0
	s_add_i32 s13, s13, s1
	s_and_b64 vcc, exec, s[2:3]
	s_cbranch_vccnz .LBB14_2
; %bb.1:
	v_mov_b32_e32 v2, s0
	v_sub_co_u32_e32 v2, vcc, s40, v2
	v_mov_b32_e32 v3, s11
	v_mov_b32_e32 v4, s10
	s_add_i32 s0, s40, 1
	v_lshlrev_b32_e32 v2, 1, v2
	v_cndmask_b32_e32 v3, v3, v4, vcc
	v_or_b32_e32 v2, 1, v2
	v_mov_b32_e32 v4, s0
	v_cndmask_b32_e32 v2, v2, v4, vcc
	v_cvt_f32_i32_e32 v2, v2
	v_cmp_neq_f32_e32 vcc, 1.0, v3
	s_mov_b32 s0, 0x3f2aaaab
	s_movk_i32 s2, 0x204
	v_cndmask_b32_e32 v4, 1.0, v2, vcc
	v_cmp_neq_f32_e32 vcc, 0, v4
	v_cndmask_b32_e32 v5, 1.0, v3, vcc
	v_frexp_mant_f32_e64 v2, |v5|
	v_cmp_gt_f32_e32 vcc, s0, v2
	v_cndmask_b32_e64 v3, 1.0, 2.0, vcc
	v_mul_f32_e32 v2, v2, v3
	v_add_f32_e32 v3, 1.0, v2
	v_rcp_f32_e32 v6, v3
	v_add_f32_e32 v7, -1.0, v2
	v_add_f32_e32 v8, -1.0, v3
	v_sub_f32_e32 v2, v2, v8
	v_mul_f32_e32 v8, v7, v6
	v_mul_f32_e32 v9, v3, v8
	v_fma_f32 v3, v8, v3, -v9
	v_fmac_f32_e32 v3, v8, v2
	v_add_f32_e32 v2, v9, v3
	v_sub_f32_e32 v10, v7, v2
	v_sub_f32_e32 v9, v2, v9
	;; [unrolled: 1-line block ×5, first 2 shown]
	v_add_f32_e32 v2, v3, v2
	v_add_f32_e32 v2, v10, v2
	v_mul_f32_e32 v2, v6, v2
	v_add_f32_e32 v6, v8, v2
	v_sub_f32_e32 v3, v6, v8
	v_sub_f32_e32 v7, v2, v3
	v_mul_f32_e32 v2, v6, v6
	v_fma_f32 v3, v6, v6, -v2
	v_add_f32_e32 v8, v7, v7
	v_fmac_f32_e32 v3, v6, v8
	v_add_f32_e32 v8, v2, v3
	v_mov_b32_e32 v9, 0x3e91f4c4
	v_sub_f32_e32 v2, v8, v2
	v_fmac_f32_e32 v9, 0x3e76c4e1, v8
	v_mov_b32_e32 v10, 0x3ecccdef
	v_sub_f32_e32 v2, v3, v2
	v_mul_f32_e32 v3, v6, v8
	v_fmac_f32_e32 v10, v8, v9
	v_fma_f32 v9, v8, v6, -v3
	v_fmac_f32_e32 v9, v8, v7
	v_fmac_f32_e32 v9, v2, v6
	v_add_f32_e32 v11, v3, v9
	v_sub_f32_e32 v3, v11, v3
	v_sub_f32_e32 v9, v9, v3
	v_mul_f32_e32 v3, v8, v10
	v_fma_f32 v8, v8, v10, -v3
	v_fmac_f32_e32 v8, v2, v10
	v_add_f32_e32 v10, v3, v8
	v_sub_f32_e32 v2, v10, v3
	v_sub_f32_e32 v8, v8, v2
	v_cvt_f64_f32_e64 v[2:3], |v5|
	v_add_f32_e32 v12, 0x3f2aaaaa, v10
	v_add_f32_e32 v13, 0xbf2aaaaa, v12
	;; [unrolled: 1-line block ×3, first 2 shown]
	v_frexp_exp_i32_f64_e32 v2, v[2:3]
	v_sub_f32_e32 v10, v10, v13
	v_add_f32_e32 v3, v8, v10
	v_add_f32_e32 v8, v12, v3
	v_sub_f32_e32 v10, v12, v8
	v_add_f32_e32 v3, v3, v10
	v_mul_f32_e32 v10, v11, v8
	v_fma_f32 v12, v11, v8, -v10
	v_subbrev_co_u32_e32 v2, vcc, 0, v2, vcc
	v_cvt_f32_i32_e32 v2, v2
	v_fmac_f32_e32 v12, v11, v3
	s_mov_b32 s0, 0x3f317218
	v_fmac_f32_e32 v12, v9, v8
	v_mul_f32_e32 v3, 0x3f317218, v2
	v_fma_f32 v8, v2, s0, -v3
	v_fmac_f32_e32 v8, 0xb102e308, v2
	v_ldexp_f32 v2, v7, 1
	v_add_f32_e32 v7, v3, v8
	v_sub_f32_e32 v3, v7, v3
	v_ldexp_f32 v6, v6, 1
	v_sub_f32_e32 v3, v8, v3
	v_add_f32_e32 v8, v10, v12
	v_sub_f32_e32 v9, v8, v10
	v_add_f32_e32 v10, v6, v8
	v_sub_f32_e32 v9, v12, v9
	v_sub_f32_e32 v6, v10, v6
	v_sub_f32_e32 v6, v8, v6
	v_add_f32_e32 v2, v2, v9
	v_add_f32_e32 v2, v2, v6
	;; [unrolled: 1-line block ×3, first 2 shown]
	v_sub_f32_e32 v8, v6, v10
	v_sub_f32_e32 v2, v2, v8
	v_add_f32_e32 v8, v7, v6
	v_sub_f32_e32 v9, v8, v7
	v_sub_f32_e32 v10, v8, v9
	;; [unrolled: 1-line block ×4, first 2 shown]
	v_add_f32_e32 v6, v6, v7
	v_add_f32_e32 v7, v3, v2
	v_sub_f32_e32 v9, v7, v3
	v_sub_f32_e32 v10, v7, v9
	;; [unrolled: 1-line block ×4, first 2 shown]
	v_add_f32_e32 v2, v2, v3
	v_add_f32_e32 v3, v7, v6
	v_add_f32_e32 v6, v8, v3
	v_sub_f32_e32 v7, v6, v8
	v_sub_f32_e32 v3, v3, v7
	v_add_f32_e32 v2, v2, v3
	v_add_f32_e32 v3, v6, v2
	v_sub_f32_e32 v6, v3, v6
	v_sub_f32_e32 v2, v2, v6
	v_mul_f32_e32 v6, v4, v3
	v_fma_f32 v3, v4, v3, -v6
	v_fmac_f32_e32 v3, v4, v2
	v_add_f32_e32 v2, v6, v3
	v_cmp_class_f32_e64 vcc, v6, s2
	v_sub_f32_e32 v7, v2, v6
	v_cndmask_b32_e32 v2, v2, v6, vcc
	s_mov_b32 s1, 0x42b17218
	v_mov_b32_e32 v6, 0x37000000
	v_cmp_eq_f32_e32 vcc, s1, v2
	v_cndmask_b32_e32 v6, 0, v6, vcc
	v_sub_f32_e32 v3, v3, v7
	v_sub_f32_e32 v7, v2, v6
	s_mov_b32 s3, 0x3fb8aa3b
	v_mul_f32_e32 v8, 0x3fb8aa3b, v7
	v_fma_f32 v9, v7, s3, -v8
	v_rndne_f32_e32 v10, v8
	v_fmac_f32_e32 v9, 0x32a5705f, v7
	v_sub_f32_e32 v8, v8, v10
	v_add_f32_e32 v8, v8, v9
	v_exp_f32_e32 v8, v8
	v_cvt_i32_f32_e32 v9, v10
	s_mov_b32 s0, 0x7f800000
	v_cmp_neq_f32_e64 vcc, |v2|, s0
	s_mov_b32 s0, 0xc2ce8ed0
	v_cndmask_b32_e32 v2, 0, v3, vcc
	v_ldexp_f32 v3, v8, v9
	v_cmp_ngt_f32_e32 vcc, s0, v7
	v_add_f32_e32 v2, v6, v2
	v_cndmask_b32_e32 v3, 0, v3, vcc
	v_mov_b32_e32 v6, 0x7f800000
	v_cmp_nlt_f32_e32 vcc, s1, v7
	v_cndmask_b32_e32 v3, v6, v3, vcc
	v_fma_f32 v2, v3, v2, v3
	v_cmp_class_f32_e64 vcc, v3, s2
	v_cndmask_b32_e32 v2, v2, v3, vcc
	v_trunc_f32_e32 v3, v4
	v_cmp_eq_f32_e32 vcc, v3, v4
	v_mul_f32_e32 v3, 0.5, v4
	v_trunc_f32_e32 v8, v3
	v_cmp_neq_f32_e64 s[0:1], v8, v3
	s_and_b64 s[0:1], vcc, s[0:1]
	v_cndmask_b32_e64 v3, 1.0, v5, s[0:1]
	s_brev_b32 s9, -2
	v_mov_b32_e32 v7, 0x7fc00000
	v_bfi_b32 v2, s9, v2, v3
	v_cndmask_b32_e32 v3, v7, v2, vcc
	v_cmp_gt_f32_e32 vcc, 0, v5
	v_cndmask_b32_e32 v2, v2, v3, vcc
	v_cmp_class_f32_e64 s[10:11], v5, s2
	v_cmp_eq_f32_e32 vcc, 0, v5
	v_cmp_gt_f32_e64 s[2:3], 0, v4
	s_xor_b64 s[2:3], s[2:3], vcc
	v_cndmask_b32_e64 v3, v6, 0, s[2:3]
	v_cndmask_b32_e64 v4, 0, v5, s[0:1]
	v_bfi_b32 v3, s9, v3, v4
	s_or_b64 vcc, vcc, s[10:11]
	v_cndmask_b32_e32 v2, v2, v3, vcc
	v_cmp_o_f32_e32 vcc, v5, v5
	v_cndmask_b32_e32 v33, v7, v2, vcc
.LBB14_2:
	s_load_dwordx16 s[16:31], s[4:5], 0x0
	s_mul_hi_u32 s49, s45, s12
	s_mul_hi_u32 s48, s43, s13
	v_cmp_eq_u32_e64 s[0:1], 0, v1
	v_mbcnt_lo_u32_b32 v32, -1, 0
	s_and_saveexec_b64 s[12:13], s[0:1]
	s_cbranch_execz .LBB14_7
; %bb.3:
	s_load_dwordx4 s[52:55], s[4:5], 0x70
	v_lshlrev_b32_e32 v2, 4, v0
	s_waitcnt lgkmcnt(0)
	s_mul_i32 s2, s33, s54
	s_mul_i32 s9, s52, s6
	;; [unrolled: 1-line block ×3, first 2 shown]
	s_add_i32 s2, s2, s9
	s_add_i32 s2, s2, s3
	s_ashr_i32 s3, s2, 31
	s_add_u32 s2, s16, s2
	s_addc_u32 s3, s17, s3
	global_load_dwordx4 v[9:12], v2, s[2:3]
	v_mbcnt_hi_u32_b32 v2, -1, v32
	v_and_b32_e32 v3, 0x60, v2
	v_xor_b32_e32 v4, 4, v2
	v_add_u32_e32 v6, 32, v3
	v_cmp_lt_i32_e32 vcc, v4, v6
	v_cndmask_b32_e32 v3, v2, v4, vcc
	v_lshlrev_b32_e32 v7, 2, v3
	v_xor_b32_e32 v14, 2, v2
	v_cmp_lt_i32_e32 vcc, v14, v6
	v_cndmask_b32_e32 v14, v2, v14, vcc
	v_lshlrev_b32_e32 v14, 2, v14
	v_xor_b32_e32 v15, 1, v2
	v_cmp_lt_i32_e32 vcc, v15, v6
	v_cndmask_b32_e32 v2, v2, v15, vcc
	v_lshlrev_b32_e32 v2, 2, v2
	s_mov_b32 s9, 0x42fe0000
	s_waitcnt vmcnt(0)
	v_mul_f32_e32 v8, s8, v9
	v_mul_f32_e32 v5, s8, v10
	;; [unrolled: 1-line block ×4, first 2 shown]
	v_max_f32_e64 v10, |v8|, |v5|
	v_max3_f32 v10, v10, |v4|, |v3|
	ds_bpermute_b32 v13, v7, v10
	v_fma_f32 v9, s8, v9, v5
	v_fmac_f32_e32 v9, s8, v11
	v_fmac_f32_e32 v9, s8, v12
	s_waitcnt lgkmcnt(0)
	v_max_f32_e32 v13, v13, v13
	v_max_f32_e32 v10, v10, v13
	ds_bpermute_b32 v13, v14, v10
	s_waitcnt lgkmcnt(0)
	v_max_f32_e32 v6, v13, v13
	v_max_f32_e32 v6, v10, v6
	ds_bpermute_b32 v10, v2, v6
	s_waitcnt lgkmcnt(0)
	v_max_f32_e32 v10, v10, v10
	v_max_f32_e32 v10, v6, v10
	v_div_scale_f32 v6, s[2:3], s9, s9, v10
	v_div_scale_f32 v13, vcc, v10, s9, v10
	v_rcp_f32_e32 v15, v6
	v_fma_f32 v11, -v6, v15, 1.0
	v_fmac_f32_e32 v15, v11, v15
	v_mul_f32_e32 v11, v13, v15
	v_fma_f32 v12, -v6, v11, v13
	v_fmac_f32_e32 v11, v12, v15
	v_fma_f32 v6, -v6, v11, v13
	v_div_fmas_f32 v11, v6, v15, v11
	ds_bpermute_b32 v6, v7, v9
	s_waitcnt lgkmcnt(0)
	v_add_f32_e32 v6, v9, v6
	ds_bpermute_b32 v7, v14, v6
	v_mov_b32_e32 v9, 0
	s_waitcnt lgkmcnt(0)
	v_add_f32_e32 v6, v6, v7
	ds_bpermute_b32 v7, v2, v6
	v_div_fixup_f32 v2, v11, s9, v10
	v_cmp_neq_f32_e32 vcc, 0, v2
	s_and_saveexec_b64 s[16:17], vcc
	s_cbranch_execz .LBB14_5
; %bb.4:
	v_div_scale_f32 v9, s[2:3], v2, v2, v8
	v_div_scale_f32 v12, vcc, v8, v2, v8
	v_div_scale_f32 v10, s[2:3], v2, v2, v5
	v_div_scale_f32 v11, s[2:3], v2, v2, v4
	;; [unrolled: 1-line block ×5, first 2 shown]
	s_brev_b32 s37, -2
	v_rcp_f32_e32 v15, v9
	v_rcp_f32_e32 v17, v10
	v_fma_f32 v19, -v9, v15, 1.0
	v_fmac_f32_e32 v15, v19, v15
	v_mul_f32_e32 v19, v12, v15
	v_fma_f32 v20, -v9, v19, v12
	v_fmac_f32_e32 v19, v20, v15
	v_fma_f32 v9, -v9, v19, v12
	v_div_fmas_f32 v9, v9, v15, v19
	v_div_scale_f32 v12, s[10:11], v3, v2, v3
	v_fma_f32 v15, -v10, v17, 1.0
	v_fmac_f32_e32 v17, v15, v17
	v_mul_f32_e32 v15, v13, v17
	v_fma_f32 v20, -v10, v15, v13
	v_fmac_f32_e32 v15, v20, v17
	v_rcp_f32_e32 v18, v11
	v_fma_f32 v10, -v10, v15, v13
	s_mov_b64 vcc, s[2:3]
	v_div_fmas_f32 v10, v10, v17, v15
	v_fma_f32 v19, -v11, v18, 1.0
	v_fmac_f32_e32 v18, v19, v18
	v_mul_f32_e32 v19, v14, v18
	v_fma_f32 v21, -v11, v19, v14
	v_div_fixup_f32 v8, v9, v2, v8
	v_trunc_f32_e32 v9, v8
	v_sub_f32_e32 v13, v8, v9
	v_cmp_ge_f32_e64 s[2:3], |v13|, 0.5
	v_cndmask_b32_e64 v13, 0, 1.0, s[2:3]
	v_bfi_b32 v8, s37, v13, v8
	v_add_f32_e32 v8, v9, v8
	v_rcp_f32_e32 v9, v16
	v_fmac_f32_e32 v19, v21, v18
	v_fma_f32 v11, -v11, v19, v14
	s_mov_b64 vcc, s[8:9]
	v_fma_f32 v13, -v16, v9, 1.0
	v_fmac_f32_e32 v9, v13, v9
	v_div_fmas_f32 v11, v11, v18, v19
	v_mul_f32_e32 v13, v12, v9
	v_fma_f32 v14, -v16, v13, v12
	v_fmac_f32_e32 v13, v14, v9
	v_fma_f32 v12, -v16, v13, v12
	s_mov_b64 vcc, s[10:11]
	v_div_fmas_f32 v9, v12, v9, v13
	v_div_fixup_f32 v5, v10, v2, v5
	v_trunc_f32_e32 v10, v5
	v_sub_f32_e32 v12, v5, v10
	v_cmp_ge_f32_e64 s[2:3], |v12|, 0.5
	v_cndmask_b32_e64 v12, 0, 1.0, s[2:3]
	v_bfi_b32 v5, s37, v12, v5
	v_add_f32_e32 v5, v10, v5
	v_cvt_i32_f32_e32 v8, v8
	v_cvt_i32_f32_e32 v5, v5
	v_div_fixup_f32 v4, v11, v2, v4
	v_trunc_f32_e32 v10, v4
	v_sub_f32_e32 v11, v4, v10
	v_cmp_ge_f32_e64 s[2:3], |v11|, 0.5
	v_cndmask_b32_e64 v11, 0, 1.0, s[2:3]
	v_bfi_b32 v4, s37, v11, v4
	v_div_fixup_f32 v3, v9, v2, v3
	v_trunc_f32_e32 v9, v3
	v_add_f32_e32 v4, v10, v4
	v_sub_f32_e32 v10, v3, v9
	v_cmp_ge_f32_e64 s[2:3], |v10|, 0.5
	v_cndmask_b32_e64 v10, 0, 1.0, s[2:3]
	v_cvt_i32_f32_e32 v4, v4
	v_bfi_b32 v3, s37, v10, v3
	v_add_f32_e32 v3, v9, v3
	v_cvt_i32_f32_e32 v3, v3
	v_and_b32_e32 v4, 0xff, v4
	v_lshlrev_b32_e32 v4, 16, v4
	v_lshl_or_b32 v3, v3, 24, v4
	v_mov_b32_e32 v4, 8
	v_lshlrev_b32_sdwa v4, v4, v5 dst_sel:DWORD dst_unused:UNUSED_PAD src0_sel:DWORD src1_sel:BYTE_0
	v_and_b32_e32 v5, 0xff, v8
	v_or3_b32 v9, v3, v4, v5
.LBB14_5:
	s_or_b64 exec, exec, s[16:17]
	v_and_b32_e32 v4, 7, v0
	v_lshlrev_b32_e32 v3, 2, v0
	v_cmp_eq_u32_e32 vcc, 0, v4
	ds_write_b32 v3, v9
	s_and_b64 exec, exec, vcc
	s_cbranch_execz .LBB14_7
; %bb.6:
	s_waitcnt lgkmcnt(1)
	v_add_f32_e32 v3, v6, v7
	ds_write_b64 v0, v[2:3] offset:128
.LBB14_7:
	s_or_b64 exec, exec, s[12:13]
	v_and_b32_e32 v13, 3, v0
	v_lshlrev_b32_e32 v10, 2, v13
	v_mov_b32_e32 v137, 0
	s_waitcnt lgkmcnt(0)
	s_barrier
	ds_read2_b32 v[22:23], v10 offset1:4
	ds_read2_b32 v[24:25], v10 offset0:8 offset1:12
	ds_read_b128 v[2:5], v137 offset:128
	ds_read_b128 v[6:9], v137 offset:144
	ds_read2_b32 v[26:27], v10 offset0:16 offset1:20
	ds_read2_b32 v[28:29], v10 offset0:24 offset1:28
	s_ashr_i32 s41, s40, 31
	s_ashr_i32 s8, s36, 31
	s_ashr_i32 s50, s33, 31
	s_cmp_eq_u64 s[26:27], 0
	s_waitcnt lgkmcnt(0)
	s_barrier
	s_cbranch_scc1 .LBB14_9
; %bb.8:
	s_load_dword s2, s[4:5], 0xd0
	s_mov_b32 s3, 0
	s_waitcnt lgkmcnt(0)
	s_mul_i32 s2, s2, s33
	s_add_i32 s2, s2, s6
	s_lshl_b64 s[2:3], s[2:3], 2
	s_add_u32 s2, s26, s2
	s_addc_u32 s3, s27, s3
	s_load_dword s42, s[2:3], 0x0
.LBB14_9:
	v_lshlrev_b32_e32 v10, 5, v1
	v_add_u32_e32 v34, v10, v0
	s_lshl_b32 s16, s7, 7
	s_mov_b32 s17, 0
	s_waitcnt lgkmcnt(0)
	s_cmp_ge_i32 s16, s42
	v_lshlrev_b32_e32 v36, 2, v0
	v_lshlrev_b32_e32 v35, 1, v34
	s_cbranch_scc1 .LBB14_21
; %bb.10:
	s_load_dwordx4 s[36:39], s[4:5], 0x98
	s_load_dwordx2 s[12:13], s[4:5], 0x8c
	s_load_dwordx2 s[2:3], s[4:5], 0xc8
	s_xor_b32 s8, s41, s8
	s_mul_i32 s48, s48, s14
	s_waitcnt lgkmcnt(0)
	s_mul_hi_u32 s9, s36, s33
	s_mul_i32 s10, s36, s50
	s_add_i32 s46, s9, s10
	s_mul_i32 s9, s49, s44
	s_mul_i32 s11, s37, s33
	s_sub_i32 s9, s45, s9
	s_add_i32 s46, s46, s11
	s_add_i32 s10, s49, 1
	s_sub_i32 s11, s9, s44
	s_cmp_ge_u32 s9, s44
	s_cselect_b32 s10, s10, s49
	s_cselect_b32 s9, s11, s9
	s_add_i32 s11, s10, 1
	s_cmp_ge_u32 s9, s44
	s_cselect_b32 s9, s11, s10
	s_xor_b32 s9, s9, s8
	s_sub_i32 s8, s9, s8
	s_mul_i32 s13, s8, s13
	s_mul_i32 s39, s8, s39
	s_sub_i32 s8, s43, s48
	s_ashr_i32 s44, s13, 31
	s_ashr_i32 s45, s39, 31
	s_sub_i32 s9, s8, s14
	s_cmp_ge_u32 s8, s14
	s_cselect_b32 s8, s9, s8
	s_sub_i32 s9, s8, s14
	s_cmp_ge_u32 s8, s14
	s_cselect_b32 s8, s9, s8
	s_xor_b32 s8, s8, s50
	s_sub_i32 s8, s8, s50
	v_and_b32_e32 v11, 0x7c, v0
	v_mbcnt_hi_u32_b32 v15, -1, v32
	s_ashr_i32 s9, s8, 31
	v_add_u32_e32 v16, v10, v11
	v_and_b32_e32 v11, 0x7c, v15
	s_load_dword s10, s[4:5], 0xd4
	s_load_dwordx2 s[48:49], s[4:5], 0xa8
	s_mul_i32 s9, s2, s9
	s_mul_hi_u32 s11, s2, s8
	v_add_u32_e32 v12, 4, v11
	v_xor_b32_e32 v11, 2, v15
	s_add_i32 s9, s11, s9
	s_mul_i32 s3, s3, s8
	s_mul_i32 s54, s15, s6
	v_cmp_lt_i32_e32 vcc, v11, v12
	v_xor_b32_e32 v14, 1, v15
	s_add_i32 s43, s9, s3
	s_ashr_i32 s55, s54, 31
	v_cndmask_b32_e32 v11, v15, v11, vcc
	v_cmp_lt_i32_e32 vcc, v14, v12
	v_cndmask_b32_e32 v12, v15, v14, vcc
	s_cmp_lg_u64 s[22:23], 0
	v_and_b32_e32 v14, 0x60, v15
	v_mul_lo_u32 v20, v16, s12
	s_mul_i32 s47, s36, s33
	s_mul_i32 s51, s2, s8
	s_cselect_b64 s[26:27], -1, 0
	v_add_u32_e32 v18, 32, v14
	s_waitcnt lgkmcnt(0)
	s_lshl_b32 s36, s10, 7
	v_cmp_eq_u32_e64 s[2:3], 3, v13
	v_cmp_eq_u32_e64 s[14:15], 0, v13
	v_cmp_eq_u32_e64 s[8:9], 1, v13
	v_cmp_eq_u32_e64 s[10:11], 2, v13
	v_xor_b32_e32 v13, 4, v15
	v_cmp_lt_i32_e32 vcc, v13, v18
	v_xor_b32_e32 v14, 8, v15
	v_cndmask_b32_e32 v13, v15, v13, vcc
	v_cmp_lt_i32_e32 vcc, v14, v18
	v_xor_b32_e32 v30, 16, v15
	s_add_u32 s56, s18, s13
	v_and_b32_e32 v17, 12, v36
	v_add_u32_e32 v21, s12, v20
	v_cndmask_b32_e32 v14, v15, v14, vcc
	v_cmp_lt_i32_e32 vcc, v30, v18
	s_addc_u32 s57, s19, s44
	s_lshl_b64 s[52:53], s[16:17], 1
	s_mov_b32 s37, s17
	v_add_u32_e32 v19, s12, v21
	v_cndmask_b32_e32 v15, v15, v30, vcc
	v_mov_b32_e32 v18, s46
	v_add_co_u32_e32 v57, vcc, s47, v17
	s_add_u32 s17, s51, s52
	v_add_u32_e32 v39, s12, v19
	v_addc_co_u32_e32 v58, vcc, 0, v18, vcc
	s_addc_u32 s43, s43, s53
	v_ashrrev_i32_e32 v40, 31, v39
	v_add_co_u32_e32 v17, vcc, v57, v39
	s_add_u32 s22, s22, s54
	v_addc_co_u32_e32 v18, vcc, v58, v40, vcc
	s_addc_u32 s23, s23, s55
	v_mov_b32_e32 v30, s57
	v_add_co_u32_e32 v37, vcc, s56, v17
	s_add_u32 s17, s22, s17
	v_addc_co_u32_e32 v38, vcc, v30, v18, vcc
	v_lshlrev_b32_e32 v16, 1, v16
	s_addc_u32 s22, s23, s43
	v_mov_b32_e32 v17, s22
	v_add_co_u32_e32 v16, vcc, s17, v16
	v_addc_co_u32_e32 v17, vcc, 0, v17, vcc
	s_lshl_b64 s[22:23], s[36:37], 1
	v_add_co_u32_e32 v30, vcc, 6, v16
	s_add_u32 s17, s56, s47
	v_addc_co_u32_e32 v31, vcc, 0, v17, vcc
	s_addc_u32 s37, s57, s46
	v_mov_b32_e32 v16, s37
	v_add_co_u32_e32 v39, vcc, s17, v39
	v_addc_co_u32_e32 v40, vcc, v16, v40, vcc
	v_ashrrev_i32_e32 v48, 31, v19
	v_add_co_u32_e32 v16, vcc, v57, v19
	v_addc_co_u32_e32 v17, vcc, v58, v48, vcc
	v_mov_b32_e32 v18, s57
	v_add_co_u32_e32 v41, vcc, s56, v16
	v_bfe_u32 v16, v0, 3, 27
	v_addc_co_u32_e32 v42, vcc, v18, v17, vcc
	v_mul_hi_u32_u24_e32 v17, 34, v16
	v_mul_u32_u24_e32 v16, 34, v16
	v_mov_b32_e32 v18, s33
	v_mad_u64_u32 v[16:17], s[52:53], s48, v18, v[16:17]
	v_mul_lo_u32 v18, v10, s38
	s_mul_i32 s43, s49, s33
	s_mul_i32 s48, s48, s50
	s_add_i32 s48, s48, s43
	s_add_u32 s43, s20, s39
	v_ashrrev_i32_e32 v45, 31, v18
	v_add_u32_e32 v17, s48, v17
	v_add_co_u32_e32 v43, vcc, v16, v18
	s_addc_u32 s49, s21, s45
	v_addc_co_u32_e32 v44, vcc, v17, v45, vcc
	v_mov_b32_e32 v46, s49
	v_add_co_u32_e32 v43, vcc, s43, v43
	v_addc_co_u32_e32 v44, vcc, v46, v44, vcc
	v_and_b32_e32 v46, 28, v36
	v_add_co_u32_e32 v53, vcc, v16, v46
	v_addc_co_u32_e32 v54, vcc, 0, v17, vcc
	v_add_co_u32_e32 v46, vcc, v53, v18
	v_addc_co_u32_e32 v47, vcc, v54, v45, vcc
	v_mov_b32_e32 v49, s49
	v_add_co_u32_e32 v45, vcc, s43, v46
	v_addc_co_u32_e32 v46, vcc, v49, v47, vcc
	v_mov_b32_e32 v49, s37
	v_add_co_u32_e32 v47, vcc, s17, v19
	v_addc_co_u32_e32 v48, vcc, v49, v48, vcc
	v_ashrrev_i32_e32 v56, 31, v21
	v_add_co_u32_e32 v19, vcc, v57, v21
	v_addc_co_u32_e32 v50, vcc, v58, v56, vcc
	v_mov_b32_e32 v51, s57
	v_add_co_u32_e32 v49, vcc, s56, v19
	v_addc_co_u32_e32 v50, vcc, v51, v50, vcc
	v_mov_b32_e32 v19, s45
	v_add_co_u32_e32 v16, vcc, s39, v16
	v_addc_co_u32_e32 v17, vcc, v17, v19, vcc
	v_add_u32_e32 v59, s38, v18
	v_ashrrev_i32_e32 v55, 31, v59
	v_add_co_u32_e32 v18, vcc, v16, v59
	v_addc_co_u32_e32 v19, vcc, v17, v55, vcc
	v_mov_b32_e32 v52, s21
	v_add_co_u32_e32 v51, vcc, s20, v18
	v_addc_co_u32_e32 v52, vcc, v52, v19, vcc
	v_mov_b32_e32 v19, s45
	v_add_co_u32_e32 v18, vcc, s39, v53
	v_addc_co_u32_e32 v19, vcc, v54, v19, vcc
	v_add_co_u32_e32 v53, vcc, v18, v59
	v_addc_co_u32_e32 v54, vcc, v19, v55, vcc
	v_mov_b32_e32 v55, s21
	v_add_co_u32_e32 v53, vcc, s20, v53
	v_addc_co_u32_e32 v54, vcc, v55, v54, vcc
	v_mov_b32_e32 v60, s37
	;; [unrolled: 3-line block ×3, first 2 shown]
	v_add_co_u32_e32 v57, vcc, s13, v57
	v_addc_co_u32_e32 v21, vcc, v58, v21, vcc
	v_ashrrev_i32_e32 v63, 31, v20
	v_add_co_u32_e32 v57, vcc, v57, v20
	v_addc_co_u32_e32 v21, vcc, v21, v63, vcc
	v_mov_b32_e32 v58, s19
	v_add_co_u32_e32 v57, vcc, s18, v57
	v_addc_co_u32_e32 v58, vcc, v58, v21, vcc
	v_add_u32_e32 v115, s38, v59
	v_ashrrev_i32_e32 v21, 31, v115
	v_add_co_u32_e32 v59, vcc, v16, v115
	v_addc_co_u32_e32 v60, vcc, v17, v21, vcc
	v_mov_b32_e32 v61, s21
	v_add_co_u32_e32 v59, vcc, s20, v59
	v_addc_co_u32_e32 v60, vcc, v61, v60, vcc
	v_add_co_u32_e32 v61, vcc, v18, v115
	s_add_u32 s13, s47, s13
	v_addc_co_u32_e32 v21, vcc, v19, v21, vcc
	s_addc_u32 s17, s46, s44
	v_add_u32_e32 v64, 31, v10
	v_mov_b32_e32 v62, s21
	v_add_co_u32_e32 v61, vcc, s20, v61
	s_add_u32 s13, s18, s13
	v_mul_lo_u32 v65, s38, v64
	v_addc_co_u32_e32 v62, vcc, v62, v21, vcc
	s_addc_u32 s17, s19, s17
	v_mov_b32_e32 v21, s17
	v_add_co_u32_e32 v20, vcc, s13, v20
	v_addc_co_u32_e32 v21, vcc, v21, v63, vcc
	v_ashrrev_i32_e32 v66, 31, v65
	v_add_co_u32_e32 v63, vcc, v18, v65
	v_addc_co_u32_e32 v64, vcc, v19, v66, vcc
	v_mov_b32_e32 v67, s21
	v_add_co_u32_e32 v63, vcc, s20, v63
	v_addc_co_u32_e32 v64, vcc, v67, v64, vcc
	v_add_u32_e32 v68, 30, v10
	v_add_co_u32_e32 v65, vcc, v16, v65
	v_mul_lo_u32 v69, s38, v68
	v_addc_co_u32_e32 v66, vcc, v17, v66, vcc
	v_add_co_u32_e32 v65, vcc, s20, v65
	v_addc_co_u32_e32 v66, vcc, v67, v66, vcc
	v_ashrrev_i32_e32 v70, 31, v69
	v_add_co_u32_e32 v67, vcc, v18, v69
	v_addc_co_u32_e32 v68, vcc, v19, v70, vcc
	v_mov_b32_e32 v71, s21
	v_add_co_u32_e32 v67, vcc, s20, v67
	v_addc_co_u32_e32 v68, vcc, v71, v68, vcc
	v_add_u32_e32 v72, 29, v10
	v_add_co_u32_e32 v69, vcc, v16, v69
	v_mul_lo_u32 v73, s38, v72
	v_addc_co_u32_e32 v70, vcc, v17, v70, vcc
	;; [unrolled: 12-line block ×11, first 2 shown]
	v_add_co_u32_e32 v105, vcc, s20, v105
	v_addc_co_u32_e32 v106, vcc, v107, v106, vcc
	v_ashrrev_i32_e32 v110, 31, v109
	v_add_co_u32_e32 v107, vcc, v18, v109
	v_add_u32_e32 v137, s38, v115
	v_addc_co_u32_e32 v108, vcc, v19, v110, vcc
	v_add_u32_e32 v174, s38, v137
	v_mov_b32_e32 v111, s21
	v_add_co_u32_e32 v107, vcc, s20, v107
	v_add_u32_e32 v170, s38, v174
	v_addc_co_u32_e32 v108, vcc, v111, v108, vcc
	v_add_u32_e32 v112, 19, v10
	v_add_u32_e32 v166, s38, v170
	v_add_co_u32_e32 v109, vcc, v16, v109
	v_mul_lo_u32 v113, s38, v112
	v_add_u32_e32 v162, s38, v166
	v_addc_co_u32_e32 v110, vcc, v17, v110, vcc
	v_add_u32_e32 v158, s38, v162
	v_add_co_u32_e32 v109, vcc, s20, v109
	v_add_u32_e32 v154, s38, v158
	v_addc_co_u32_e32 v110, vcc, v111, v110, vcc
	v_add_u32_e32 v150, s38, v154
	v_ashrrev_i32_e32 v114, 31, v113
	v_add_co_u32_e32 v111, vcc, v18, v113
	v_add_u32_e32 v146, s38, v150
	v_addc_co_u32_e32 v112, vcc, v19, v114, vcc
	v_add_u32_e32 v142, s38, v146
	v_mov_b32_e32 v116, s21
	v_add_co_u32_e32 v111, vcc, s20, v111
	v_add_u32_e32 v138, s38, v142
	v_addc_co_u32_e32 v112, vcc, v116, v112, vcc
	v_add_u32_e32 v133, s38, v138
	v_add_co_u32_e32 v113, vcc, v16, v113
	v_add_u32_e32 v129, s38, v133
	v_addc_co_u32_e32 v114, vcc, v17, v114, vcc
	v_add_u32_e32 v125, s38, v129
	;; [unrolled: 4-line block ×3, first 2 shown]
	v_ashrrev_i32_e32 v118, 31, v117
	v_add_co_u32_e32 v115, vcc, v18, v117
	v_addc_co_u32_e32 v116, vcc, v19, v118, vcc
	v_mov_b32_e32 v119, s21
	v_add_co_u32_e32 v115, vcc, s20, v115
	v_addc_co_u32_e32 v116, vcc, v119, v116, vcc
	v_add_co_u32_e32 v117, vcc, v16, v117
	v_addc_co_u32_e32 v118, vcc, v17, v118, vcc
	v_add_co_u32_e32 v117, vcc, s20, v117
	v_addc_co_u32_e32 v118, vcc, v119, v118, vcc
	v_ashrrev_i32_e32 v122, 31, v121
	v_add_co_u32_e32 v119, vcc, v18, v121
	v_addc_co_u32_e32 v120, vcc, v19, v122, vcc
	v_mov_b32_e32 v123, s21
	v_add_co_u32_e32 v119, vcc, s20, v119
	v_addc_co_u32_e32 v120, vcc, v123, v120, vcc
	v_add_co_u32_e32 v121, vcc, v16, v121
	v_addc_co_u32_e32 v122, vcc, v17, v122, vcc
	v_add_co_u32_e32 v121, vcc, s20, v121
	v_addc_co_u32_e32 v122, vcc, v123, v122, vcc
	;; [unrolled: 10-line block ×15, first 2 shown]
	v_ashrrev_i32_e32 v178, 31, v137
	v_add_co_u32_e32 v18, vcc, v18, v137
	v_addc_co_u32_e32 v19, vcc, v19, v178, vcc
	v_mov_b32_e32 v177, s21
	v_add_co_u32_e32 v176, vcc, s20, v18
	v_addc_co_u32_e32 v177, vcc, v177, v19, vcc
	v_add_co_u32_e32 v16, vcc, v16, v137
	v_addc_co_u32_e32 v17, vcc, v17, v178, vcc
	v_mov_b32_e32 v18, s21
	v_add_co_u32_e32 v178, vcc, s20, v16
	v_addc_co_u32_e32 v179, vcc, v18, v17, vcc
	v_add_co_u32_e32 v186, vcc, 54, v20
	s_mul_i32 s17, s38, s16
	s_mul_i32 s18, s12, s16
	v_lshlrev_b32_e32 v180, 2, v11
	v_lshlrev_b32_e32 v181, 2, v12
	s_mul_i32 s19, s36, s12
	s_mul_i32 s20, s36, s38
	v_lshlrev_b32_e32 v182, 2, v13
	v_lshlrev_b32_e32 v183, 2, v14
	;; [unrolled: 1-line block ×4, first 2 shown]
	v_addc_co_u32_e32 v187, vcc, 0, v21, vcc
	s_mov_b32 s21, 0x3fb8aa3b
	s_mov_b32 s37, 0xc2ce8ed0
	;; [unrolled: 1-line block ×4, first 2 shown]
	v_mov_b32_e32 v137, 0
	v_mov_b32_e32 v12, 0xfeffffff
	;; [unrolled: 1-line block ×5, first 2 shown]
                                        ; implicit-def: $vgpr189
.LBB14_11:                              ; =>This Inner Loop Header: Depth=1
	v_add_co_u32_e32 v13, vcc, s18, v57
	v_addc_co_u32_e32 v14, vcc, 0, v58, vcc
	global_load_dword v15, v[13:14], off offset:2
	global_load_dword v16, v[13:14], off offset:20
	;; [unrolled: 1-line block ×4, first 2 shown]
	v_add_co_u32_e32 v13, vcc, s18, v186
	v_addc_co_u32_e32 v14, vcc, 0, v187, vcc
	global_load_ushort v19, v[13:14], off offset:-54
	global_load_ushort v20, v[13:14], off offset:-36
	;; [unrolled: 1-line block ×3, first 2 shown]
	s_nop 0
	global_load_ushort v13, v[13:14], off
	s_and_b64 vcc, exec, s[26:27]
	s_waitcnt vmcnt(7)
	v_and_b32_e32 v14, 0xf0f0f0f, v15
	v_lshrrev_b32_e32 v15, 4, v15
	v_dot4_i32_i8 v14, v14, v22, 0
	v_and_b32_e32 v15, 0xf0f0f0f, v15
	s_waitcnt vmcnt(6)
	v_and_b32_e32 v190, 0xf0f0f0f, v16
	v_lshrrev_b32_e32 v16, 4, v16
	v_dot4_i32_i8 v15, v15, v23, 0
	v_cvt_f32_i32_e32 v14, v14
	v_dot4_i32_i8 v190, v190, v24, 0
	v_and_b32_e32 v16, 0xf0f0f0f, v16
	v_cvt_f32_i32_e32 v15, v15
	s_waitcnt vmcnt(5)
	v_and_b32_e32 v191, 0xf0f0f0f, v17
	v_lshrrev_b32_e32 v17, 4, v17
	v_dot4_i32_i8 v16, v16, v25, 0
	v_cvt_f32_i32_e32 v190, v190
	v_dot4_i32_i8 v191, v191, v26, 0
	v_and_b32_e32 v17, 0xf0f0f0f, v17
	v_cvt_f32_i32_e32 v16, v16
	s_waitcnt vmcnt(4)
	v_and_b32_e32 v192, 0xf0f0f0f, v18
	v_lshrrev_b32_e32 v18, 4, v18
	v_dot4_i32_i8 v17, v17, v27, 0
	v_cvt_f32_i32_e32 v191, v191
	v_fma_f32 v14, v2, v14, -v3
	v_dot4_i32_i8 v192, v192, v28, 0
	v_and_b32_e32 v18, 0xf0f0f0f, v18
	v_cvt_f32_i32_e32 v17, v17
	v_fma_f32 v15, v2, v15, -v3
	s_waitcnt vmcnt(3)
	v_fma_mix_f32 v14, v14, v19, 0 op_sel_hi:[0,1,0]
	v_dot4_i32_i8 v18, v18, v29, 0
	v_cvt_f32_i32_e32 v192, v192
	v_fma_f32 v190, v4, v190, -v5
	v_fma_mix_f32 v14, v15, v19, v14 op_sel_hi:[0,1,0]
	v_cvt_f32_i32_e32 v18, v18
	v_fma_f32 v16, v4, v16, -v5
	s_waitcnt vmcnt(2)
	v_fma_mix_f32 v14, v190, v20, v14 op_sel_hi:[0,1,0]
	v_fma_f32 v191, v6, v191, -v7
	v_fma_mix_f32 v14, v16, v20, v14 op_sel_hi:[0,1,0]
	v_fma_f32 v17, v6, v17, -v7
	s_waitcnt vmcnt(1)
	v_fma_mix_f32 v14, v191, v21, v14 op_sel_hi:[0,1,0]
	v_fma_f32 v192, v8, v192, -v9
	v_fma_mix_f32 v14, v17, v21, v14 op_sel_hi:[0,1,0]
	v_fma_f32 v18, v8, v18, -v9
	s_waitcnt vmcnt(0)
	v_fma_mix_f32 v14, v192, v13, v14 op_sel_hi:[0,1,0]
	v_fma_mix_f32 v13, v18, v13, v14 op_sel_hi:[0,1,0]
	ds_bpermute_b32 v14, v180, v13
	s_waitcnt lgkmcnt(0)
	v_add_f32_e32 v13, v13, v14
	ds_bpermute_b32 v14, v181, v13
	s_waitcnt lgkmcnt(0)
	v_add_f32_e32 v13, v13, v14
	s_cbranch_vccz .LBB14_13
; %bb.12:                               ;   in Loop: Header=BB14_11 Depth=1
	global_load_ushort v14, v[30:31], off offset:-6
	s_waitcnt vmcnt(0)
	v_fma_mix_f32 v13, v33, v14, v13 op_sel_hi:[0,1,0]
.LBB14_13:                              ;   in Loop: Header=BB14_11 Depth=1
	v_add_co_u32_e32 v14, vcc, s18, v49
	v_addc_co_u32_e32 v15, vcc, 0, v50, vcc
	global_load_dword v16, v[14:15], off offset:2
	global_load_dword v17, v[14:15], off offset:20
	;; [unrolled: 1-line block ×4, first 2 shown]
	v_add_co_u32_e32 v14, vcc, s18, v55
	v_addc_co_u32_e32 v15, vcc, 0, v56, vcc
	global_load_ushort v20, v[14:15], off
	global_load_ushort v21, v[14:15], off offset:18
	global_load_ushort v190, v[14:15], off offset:36
	s_nop 0
	global_load_ushort v14, v[14:15], off offset:54
	s_andn2_b64 vcc, exec, s[26:27]
	s_waitcnt vmcnt(7)
	v_and_b32_e32 v15, 0xf0f0f0f, v16
	v_lshrrev_b32_e32 v16, 4, v16
	v_dot4_i32_i8 v15, v15, v22, 0
	v_and_b32_e32 v16, 0xf0f0f0f, v16
	s_waitcnt vmcnt(6)
	v_and_b32_e32 v191, 0xf0f0f0f, v17
	v_lshrrev_b32_e32 v17, 4, v17
	v_dot4_i32_i8 v16, v16, v23, 0
	v_cvt_f32_i32_e32 v15, v15
	v_dot4_i32_i8 v191, v191, v24, 0
	v_and_b32_e32 v17, 0xf0f0f0f, v17
	v_cvt_f32_i32_e32 v16, v16
	s_waitcnt vmcnt(5)
	v_and_b32_e32 v192, 0xf0f0f0f, v18
	v_lshrrev_b32_e32 v18, 4, v18
	v_dot4_i32_i8 v17, v17, v25, 0
	v_cvt_f32_i32_e32 v191, v191
	v_dot4_i32_i8 v192, v192, v26, 0
	v_and_b32_e32 v18, 0xf0f0f0f, v18
	v_cvt_f32_i32_e32 v17, v17
	s_waitcnt vmcnt(4)
	v_and_b32_e32 v193, 0xf0f0f0f, v19
	v_lshrrev_b32_e32 v19, 4, v19
	v_dot4_i32_i8 v18, v18, v27, 0
	v_cvt_f32_i32_e32 v192, v192
	v_fma_f32 v15, v2, v15, -v3
	v_dot4_i32_i8 v193, v193, v28, 0
	v_and_b32_e32 v19, 0xf0f0f0f, v19
	v_cvt_f32_i32_e32 v18, v18
	v_fma_f32 v16, v2, v16, -v3
	s_waitcnt vmcnt(3)
	v_fma_mix_f32 v15, v15, v20, 0 op_sel_hi:[0,1,0]
	v_dot4_i32_i8 v19, v19, v29, 0
	v_cvt_f32_i32_e32 v193, v193
	v_fma_f32 v191, v4, v191, -v5
	v_fma_mix_f32 v15, v16, v20, v15 op_sel_hi:[0,1,0]
	v_cvt_f32_i32_e32 v19, v19
	v_fma_f32 v17, v4, v17, -v5
	s_waitcnt vmcnt(2)
	v_fma_mix_f32 v15, v191, v21, v15 op_sel_hi:[0,1,0]
	v_fma_f32 v192, v6, v192, -v7
	v_fma_mix_f32 v15, v17, v21, v15 op_sel_hi:[0,1,0]
	v_fma_f32 v18, v6, v18, -v7
	s_waitcnt vmcnt(1)
	v_fma_mix_f32 v15, v192, v190, v15 op_sel_hi:[0,1,0]
	v_fma_mix_f32 v15, v18, v190, v15 op_sel_hi:[0,1,0]
	v_fma_f32 v16, v8, v193, -v9
	v_fma_f32 v19, v8, v19, -v9
	s_waitcnt vmcnt(0)
	v_fma_mix_f32 v15, v16, v14, v15 op_sel_hi:[0,1,0]
	v_fma_mix_f32 v14, v19, v14, v15 op_sel_hi:[0,1,0]
	ds_bpermute_b32 v15, v180, v14
	v_cndmask_b32_e64 v16, 0, 1, s[26:27]
	v_cmp_ne_u32_e64 s[12:13], 1, v16
	s_waitcnt lgkmcnt(0)
	v_add_f32_e32 v14, v14, v15
	ds_bpermute_b32 v15, v181, v14
	s_waitcnt lgkmcnt(0)
	v_add_f32_e32 v14, v14, v15
	s_cbranch_vccnz .LBB14_15
; %bb.14:                               ;   in Loop: Header=BB14_11 Depth=1
	global_load_ushort v15, v[30:31], off offset:-4
	s_waitcnt vmcnt(0)
	v_fma_mix_f32 v14, v33, v15, v14 op_sel_hi:[0,1,0]
.LBB14_15:                              ;   in Loop: Header=BB14_11 Depth=1
	v_add_co_u32_e32 v15, vcc, s18, v41
	v_addc_co_u32_e32 v16, vcc, 0, v42, vcc
	global_load_dword v17, v[15:16], off offset:2
	global_load_dword v18, v[15:16], off offset:20
	;; [unrolled: 1-line block ×4, first 2 shown]
	v_add_co_u32_e32 v15, vcc, s18, v47
	v_addc_co_u32_e32 v16, vcc, 0, v48, vcc
	global_load_ushort v21, v[15:16], off
	global_load_ushort v190, v[15:16], off offset:18
	global_load_ushort v191, v[15:16], off offset:36
	s_nop 0
	global_load_ushort v15, v[15:16], off offset:54
	s_and_b64 vcc, exec, s[12:13]
	s_waitcnt vmcnt(7)
	v_and_b32_e32 v16, 0xf0f0f0f, v17
	v_lshrrev_b32_e32 v17, 4, v17
	v_dot4_i32_i8 v16, v16, v22, 0
	v_and_b32_e32 v17, 0xf0f0f0f, v17
	s_waitcnt vmcnt(6)
	v_and_b32_e32 v192, 0xf0f0f0f, v18
	v_lshrrev_b32_e32 v18, 4, v18
	v_dot4_i32_i8 v17, v17, v23, 0
	v_cvt_f32_i32_e32 v16, v16
	v_dot4_i32_i8 v192, v192, v24, 0
	v_and_b32_e32 v18, 0xf0f0f0f, v18
	v_cvt_f32_i32_e32 v17, v17
	s_waitcnt vmcnt(5)
	v_and_b32_e32 v193, 0xf0f0f0f, v19
	v_lshrrev_b32_e32 v19, 4, v19
	v_dot4_i32_i8 v18, v18, v25, 0
	v_cvt_f32_i32_e32 v192, v192
	v_dot4_i32_i8 v193, v193, v26, 0
	v_and_b32_e32 v19, 0xf0f0f0f, v19
	v_cvt_f32_i32_e32 v18, v18
	s_waitcnt vmcnt(4)
	v_and_b32_e32 v194, 0xf0f0f0f, v20
	v_lshrrev_b32_e32 v20, 4, v20
	v_dot4_i32_i8 v19, v19, v27, 0
	v_cvt_f32_i32_e32 v193, v193
	v_fma_f32 v16, v2, v16, -v3
	v_dot4_i32_i8 v194, v194, v28, 0
	v_and_b32_e32 v20, 0xf0f0f0f, v20
	v_cvt_f32_i32_e32 v19, v19
	v_fma_f32 v17, v2, v17, -v3
	s_waitcnt vmcnt(3)
	v_fma_mix_f32 v16, v16, v21, 0 op_sel_hi:[0,1,0]
	v_dot4_i32_i8 v20, v20, v29, 0
	v_cvt_f32_i32_e32 v194, v194
	v_fma_f32 v192, v4, v192, -v5
	v_fma_mix_f32 v16, v17, v21, v16 op_sel_hi:[0,1,0]
	v_cvt_f32_i32_e32 v20, v20
	v_fma_f32 v18, v4, v18, -v5
	s_waitcnt vmcnt(2)
	v_fma_mix_f32 v16, v192, v190, v16 op_sel_hi:[0,1,0]
	v_fma_f32 v193, v6, v193, -v7
	v_fma_mix_f32 v16, v18, v190, v16 op_sel_hi:[0,1,0]
	v_fma_f32 v19, v6, v19, -v7
	s_waitcnt vmcnt(1)
	v_fma_mix_f32 v16, v193, v191, v16 op_sel_hi:[0,1,0]
	v_fma_mix_f32 v16, v19, v191, v16 op_sel_hi:[0,1,0]
	v_fma_f32 v17, v8, v194, -v9
	v_fma_f32 v20, v8, v20, -v9
	s_waitcnt vmcnt(0)
	v_fma_mix_f32 v16, v17, v15, v16 op_sel_hi:[0,1,0]
	v_fma_mix_f32 v15, v20, v15, v16 op_sel_hi:[0,1,0]
	ds_bpermute_b32 v16, v180, v15
	s_waitcnt lgkmcnt(0)
	v_add_f32_e32 v15, v15, v16
	ds_bpermute_b32 v16, v181, v15
	s_waitcnt lgkmcnt(0)
	v_add_f32_e32 v15, v15, v16
	s_cbranch_vccnz .LBB14_17
; %bb.16:                               ;   in Loop: Header=BB14_11 Depth=1
	global_load_ushort v16, v[30:31], off offset:-2
	s_waitcnt vmcnt(0)
	v_fma_mix_f32 v15, v33, v16, v15 op_sel_hi:[0,1,0]
.LBB14_17:                              ;   in Loop: Header=BB14_11 Depth=1
	v_add_co_u32_e32 v16, vcc, s18, v37
	v_addc_co_u32_e32 v17, vcc, 0, v38, vcc
	global_load_dword v18, v[16:17], off offset:2
	global_load_dword v19, v[16:17], off offset:20
	;; [unrolled: 1-line block ×4, first 2 shown]
	v_add_co_u32_e32 v16, vcc, s18, v39
	v_addc_co_u32_e32 v17, vcc, 0, v40, vcc
	global_load_ushort v190, v[16:17], off
	global_load_ushort v191, v[16:17], off offset:18
	global_load_ushort v192, v[16:17], off offset:36
	s_nop 0
	global_load_ushort v16, v[16:17], off offset:54
	s_and_b64 vcc, exec, s[12:13]
	s_waitcnt vmcnt(7)
	v_and_b32_e32 v17, 0xf0f0f0f, v18
	v_lshrrev_b32_e32 v18, 4, v18
	v_dot4_i32_i8 v17, v17, v22, 0
	v_and_b32_e32 v18, 0xf0f0f0f, v18
	s_waitcnt vmcnt(6)
	v_and_b32_e32 v193, 0xf0f0f0f, v19
	v_lshrrev_b32_e32 v19, 4, v19
	v_dot4_i32_i8 v18, v18, v23, 0
	v_cvt_f32_i32_e32 v17, v17
	v_dot4_i32_i8 v193, v193, v24, 0
	v_and_b32_e32 v19, 0xf0f0f0f, v19
	v_cvt_f32_i32_e32 v18, v18
	s_waitcnt vmcnt(5)
	v_and_b32_e32 v194, 0xf0f0f0f, v20
	v_lshrrev_b32_e32 v20, 4, v20
	v_dot4_i32_i8 v19, v19, v25, 0
	v_cvt_f32_i32_e32 v193, v193
	v_dot4_i32_i8 v194, v194, v26, 0
	v_and_b32_e32 v20, 0xf0f0f0f, v20
	v_cvt_f32_i32_e32 v19, v19
	s_waitcnt vmcnt(4)
	v_and_b32_e32 v195, 0xf0f0f0f, v21
	v_lshrrev_b32_e32 v21, 4, v21
	v_dot4_i32_i8 v20, v20, v27, 0
	v_cvt_f32_i32_e32 v194, v194
	v_fma_f32 v17, v2, v17, -v3
	v_dot4_i32_i8 v195, v195, v28, 0
	v_and_b32_e32 v21, 0xf0f0f0f, v21
	v_cvt_f32_i32_e32 v20, v20
	v_fma_f32 v18, v2, v18, -v3
	s_waitcnt vmcnt(3)
	v_fma_mix_f32 v17, v17, v190, 0 op_sel_hi:[0,1,0]
	v_dot4_i32_i8 v21, v21, v29, 0
	v_cvt_f32_i32_e32 v195, v195
	v_fma_f32 v193, v4, v193, -v5
	v_fma_mix_f32 v17, v18, v190, v17 op_sel_hi:[0,1,0]
	v_cvt_f32_i32_e32 v21, v21
	v_fma_f32 v19, v4, v19, -v5
	s_waitcnt vmcnt(2)
	v_fma_mix_f32 v17, v193, v191, v17 op_sel_hi:[0,1,0]
	v_fma_f32 v194, v6, v194, -v7
	v_fma_mix_f32 v17, v19, v191, v17 op_sel_hi:[0,1,0]
	v_fma_f32 v20, v6, v20, -v7
	s_waitcnt vmcnt(1)
	v_fma_mix_f32 v17, v194, v192, v17 op_sel_hi:[0,1,0]
	v_fma_mix_f32 v17, v20, v192, v17 op_sel_hi:[0,1,0]
	v_fma_f32 v18, v8, v195, -v9
	v_fma_f32 v21, v8, v21, -v9
	s_waitcnt vmcnt(0)
	v_fma_mix_f32 v17, v18, v16, v17 op_sel_hi:[0,1,0]
	v_fma_mix_f32 v16, v21, v16, v17 op_sel_hi:[0,1,0]
	ds_bpermute_b32 v17, v180, v16
	s_waitcnt lgkmcnt(0)
	v_add_f32_e32 v16, v16, v17
	ds_bpermute_b32 v17, v181, v16
	s_waitcnt lgkmcnt(0)
	v_add_f32_e32 v16, v16, v17
	s_cbranch_vccnz .LBB14_19
; %bb.18:                               ;   in Loop: Header=BB14_11 Depth=1
	global_load_ushort v17, v[30:31], off
	s_waitcnt vmcnt(0)
	v_fma_mix_f32 v16, v33, v17, v16 op_sel_hi:[0,1,0]
.LBB14_19:                              ;   in Loop: Header=BB14_11 Depth=1
	v_add_f32_e32 v17, 0x40051340, v13
	v_add_f32_e32 v18, 0x40051340, v14
	v_max3_f32 v17, v12, v17, v18
	v_add_f32_e32 v18, 0x40051340, v15
	v_add_f32_e32 v19, 0x40051340, v16
	v_max3_f32 v17, v17, v18, v19
	ds_bpermute_b32 v18, v182, v17
	v_cndmask_b32_e64 v13, v189, v13, s[14:15]
	v_cndmask_b32_e64 v13, v13, v14, s[8:9]
	s_add_i32 s16, s16, s36
	s_cmp_ge_i32 s16, s42
	s_waitcnt lgkmcnt(0)
	v_max_f32_e32 v18, v18, v18
	v_max_f32_e32 v19, v17, v18
	ds_bpermute_b32 v20, v183, v19
	v_add_co_u32_e32 v17, vcc, s17, v43
	v_addc_co_u32_e32 v18, vcc, 0, v44, vcc
	s_waitcnt lgkmcnt(0)
	v_max_f32_e32 v20, v20, v20
	v_max_f32_e32 v21, v19, v20
	v_add_co_u32_e32 v19, vcc, s17, v45
	v_addc_co_u32_e32 v20, vcc, 0, v46, vcc
	global_load_ushort v199, v[17:18], off
	global_load_dword v200, v[19:20], off offset:2
	ds_bpermute_b32 v17, v184, v21
	v_cndmask_b32_e64 v18, v13, v15, s[10:11]
	s_waitcnt lgkmcnt(0)
	v_max_f32_e32 v13, v17, v17
	v_max_f32_e32 v190, v21, v13
	v_sub_f32_e32 v17, v12, v190
	v_mul_f32_e32 v12, 0x3fb8aa3b, v17
	v_fma_f32 v13, v17, s21, -v12
	v_rndne_f32_e32 v14, v12
	v_fmac_f32_e32 v13, 0x32a5705f, v17
	v_sub_f32_e32 v12, v12, v14
	v_add_f32_e32 v12, v12, v13
	v_exp_f32_e32 v19, v12
	v_add_co_u32_e32 v12, vcc, s17, v51
	v_addc_co_u32_e32 v13, vcc, 0, v52, vcc
	v_cvt_i32_f32_e32 v20, v14
	v_add_co_u32_e32 v14, vcc, s17, v53
	v_addc_co_u32_e32 v15, vcc, 0, v54, vcc
	global_load_ushort v201, v[12:13], off
	global_load_dword v202, v[14:15], off offset:2
	v_cndmask_b32_e64 v12, v18, v16, s[2:3]
	v_sub_f32_e32 v16, v12, v190
	v_mul_f32_e32 v12, 0x3fb8aa3b, v16
	v_fma_f32 v14, v16, s21, -v12
	v_rndne_f32_e32 v15, v12
	v_fmac_f32_e32 v14, 0x32a5705f, v16
	v_sub_f32_e32 v12, v12, v15
	v_add_f32_e32 v12, v12, v14
	v_exp_f32_e32 v12, v12
	v_cvt_i32_f32_e32 v14, v15
	v_ldexp_f32 v13, v19, v20
	v_cmp_ngt_f32_e32 vcc, s37, v17
	v_cndmask_b32_e32 v13, 0, v13, vcc
	v_cmp_nlt_f32_e32 vcc, s38, v17
	v_cndmask_b32_e32 v17, v188, v13, vcc
	v_ldexp_f32 v18, v12, v14
	v_add_co_u32_e32 v12, vcc, s17, v59
	v_addc_co_u32_e32 v13, vcc, 0, v60, vcc
	v_add_co_u32_e32 v14, vcc, s17, v61
	v_addc_co_u32_e32 v15, vcc, 0, v62, vcc
	global_load_ushort v203, v[12:13], off
	global_load_dword v204, v[14:15], off offset:2
	v_cmp_ngt_f32_e32 vcc, s37, v16
	v_cndmask_b32_e32 v12, 0, v18, vcc
	v_cmp_nlt_f32_e32 vcc, s38, v16
	v_cndmask_b32_e32 v189, v188, v12, vcc
	v_cvt_f16_f32_e32 v13, v17
	v_cvt_f16_f32_e32 v12, v189
	v_add_co_u32_e32 v195, vcc, s17, v178
	v_addc_co_u32_e32 v196, vcc, 0, v179, vcc
	v_mul_u32_u24_e32 v13, 0x10001, v13
	ds_write_b16 v35, v12
	v_add_co_u32_e32 v197, vcc, s17, v176
	v_fma_f32 v137, v137, v17, v189
	v_pk_mul_f16 v205, v11, v13
	ds_read_b128 v[191:194], v185
	v_pk_mul_f16 v206, v10, v13
	ds_read_b128 v[18:21], v185 offset:16
	ds_read_b128 v[14:17], v185 offset:32
	;; [unrolled: 1-line block ×3, first 2 shown]
	v_addc_co_u32_e32 v198, vcc, 0, v177, vcc
	global_load_ushort v208, v[195:196], off
	global_load_dword v209, v[197:198], off offset:2
	s_waitcnt lgkmcnt(3)
	v_mul_u32_u24_sdwa v207, v191, s39 dst_sel:DWORD dst_unused:UNUSED_PAD src0_sel:WORD_0 src1_sel:DWORD
	v_mul_u32_u24_sdwa v191, v191, s39 dst_sel:DWORD dst_unused:UNUSED_PAD src0_sel:WORD_1 src1_sel:DWORD
	s_waitcnt vmcnt(7)
	v_mul_u32_u24_e32 v195, 0x10001, v199
	s_waitcnt vmcnt(6)
	v_pk_lshrrev_b16 v196, 8, v200 op_sel:[1,0] op_sel_hi:[0,0]
	v_lshrrev_b32_e32 v197, 16, v196
	v_cvt_f16_i16_sdwa v196, sext(v196) dst_sel:DWORD dst_unused:UNUSED_PAD src0_sel:BYTE_0
	v_cvt_f16_i16_sdwa v197, sext(v197) dst_sel:DWORD dst_unused:UNUSED_PAD src0_sel:BYTE_0
	v_pack_b32_f16 v196, v196, v197
	v_pk_lshrrev_b16 v197, 8, v200 op_sel:[1,1] op_sel_hi:[0,1]
	v_lshrrev_b32_e32 v198, 16, v197
	v_cvt_f16_i16_sdwa v197, sext(v197) dst_sel:DWORD dst_unused:UNUSED_PAD src0_sel:BYTE_0
	v_cvt_f16_i16_sdwa v198, sext(v198) dst_sel:DWORD dst_unused:UNUSED_PAD src0_sel:BYTE_0
	v_pack_b32_f16 v197, v197, v198
	v_pk_mul_f16 v196, v196, v195
	v_pk_mul_f16 v195, v197, v195
	v_pk_fma_f16 v200, v195, v207, v206
	v_add_co_u32_e32 v195, vcc, s17, v174
	v_pk_fma_f16 v199, v196, v207, v205
	v_addc_co_u32_e32 v196, vcc, 0, v175, vcc
	v_add_co_u32_e32 v197, vcc, s17, v172
	v_addc_co_u32_e32 v198, vcc, 0, v173, vcc
	global_load_ushort v205, v[195:196], off
	global_load_dword v206, v[197:198], off offset:2
	s_waitcnt vmcnt(7)
	v_mul_u32_u24_e32 v195, 0x10001, v201
	s_waitcnt vmcnt(6)
	v_pk_lshrrev_b16 v196, 8, v202 op_sel:[1,0] op_sel_hi:[0,0]
	v_lshrrev_b32_e32 v197, 16, v196
	v_cvt_f16_i16_sdwa v196, sext(v196) dst_sel:DWORD dst_unused:UNUSED_PAD src0_sel:BYTE_0
	v_cvt_f16_i16_sdwa v197, sext(v197) dst_sel:DWORD dst_unused:UNUSED_PAD src0_sel:BYTE_0
	v_pack_b32_f16 v196, v196, v197
	v_pk_lshrrev_b16 v197, 8, v202 op_sel:[1,1] op_sel_hi:[0,1]
	v_lshrrev_b32_e32 v198, 16, v197
	v_cvt_f16_i16_sdwa v197, sext(v197) dst_sel:DWORD dst_unused:UNUSED_PAD src0_sel:BYTE_0
	v_cvt_f16_i16_sdwa v198, sext(v198) dst_sel:DWORD dst_unused:UNUSED_PAD src0_sel:BYTE_0
	v_pack_b32_f16 v197, v197, v198
	v_pk_mul_f16 v196, v196, v195
	v_pk_mul_f16 v195, v197, v195
	v_pk_fma_f16 v199, v196, v191, v199
	v_pk_fma_f16 v191, v195, v191, v200
	v_add_co_u32_e32 v195, vcc, s17, v170
	v_addc_co_u32_e32 v196, vcc, 0, v171, vcc
	v_add_co_u32_e32 v197, vcc, s17, v168
	v_addc_co_u32_e32 v198, vcc, 0, v169, vcc
	global_load_ushort v201, v[195:196], off
	s_nop 0
	global_load_dword v197, v[197:198], off offset:2
	v_mul_u32_u24_sdwa v200, v192, s39 dst_sel:DWORD dst_unused:UNUSED_PAD src0_sel:WORD_0 src1_sel:DWORD
	s_waitcnt vmcnt(7)
	v_mul_u32_u24_e32 v195, 0x10001, v203
	s_waitcnt vmcnt(6)
	v_pk_lshrrev_b16 v196, 8, v204 op_sel:[1,0] op_sel_hi:[0,0]
	v_lshrrev_b32_e32 v198, 16, v196
	v_cvt_f16_i16_sdwa v196, sext(v196) dst_sel:DWORD dst_unused:UNUSED_PAD src0_sel:BYTE_0
	v_cvt_f16_i16_sdwa v198, sext(v198) dst_sel:DWORD dst_unused:UNUSED_PAD src0_sel:BYTE_0
	v_pack_b32_f16 v196, v196, v198
	v_pk_lshrrev_b16 v198, 8, v204 op_sel:[1,1] op_sel_hi:[0,1]
	v_lshrrev_b32_e32 v202, 16, v198
	v_cvt_f16_i16_sdwa v198, sext(v198) dst_sel:DWORD dst_unused:UNUSED_PAD src0_sel:BYTE_0
	v_cvt_f16_i16_sdwa v202, sext(v202) dst_sel:DWORD dst_unused:UNUSED_PAD src0_sel:BYTE_0
	v_pack_b32_f16 v198, v198, v202
	v_pk_mul_f16 v196, v196, v195
	v_pk_mul_f16 v195, v198, v195
	v_pk_fma_f16 v198, v196, v200, v199
	v_pk_fma_f16 v199, v195, v200, v191
	v_add_co_u32_e32 v191, vcc, s17, v166
	v_mul_u32_u24_sdwa v200, v192, s39 dst_sel:DWORD dst_unused:UNUSED_PAD src0_sel:WORD_1 src1_sel:DWORD
	v_addc_co_u32_e32 v192, vcc, 0, v167, vcc
	v_add_co_u32_e32 v195, vcc, s17, v164
	v_addc_co_u32_e32 v196, vcc, 0, v165, vcc
	global_load_ushort v202, v[191:192], off
	global_load_dword v203, v[195:196], off offset:2
	s_waitcnt vmcnt(6)
	v_pk_lshrrev_b16 v192, 8, v209 op_sel:[1,0] op_sel_hi:[0,0]
	v_lshrrev_b32_e32 v195, 16, v192
	v_cvt_f16_i16_sdwa v192, sext(v192) dst_sel:DWORD dst_unused:UNUSED_PAD src0_sel:BYTE_0
	v_cvt_f16_i16_sdwa v195, sext(v195) dst_sel:DWORD dst_unused:UNUSED_PAD src0_sel:BYTE_0
	v_pack_b32_f16 v192, v192, v195
	v_pk_lshrrev_b16 v195, 8, v209 op_sel:[1,1] op_sel_hi:[0,1]
	v_lshrrev_b32_e32 v196, 16, v195
	v_cvt_f16_i16_sdwa v195, sext(v195) dst_sel:DWORD dst_unused:UNUSED_PAD src0_sel:BYTE_0
	v_cvt_f16_i16_sdwa v196, sext(v196) dst_sel:DWORD dst_unused:UNUSED_PAD src0_sel:BYTE_0
	v_mul_u32_u24_e32 v191, 0x10001, v208
	v_pack_b32_f16 v195, v195, v196
	v_pk_mul_f16 v192, v192, v191
	v_pk_mul_f16 v191, v195, v191
	v_pk_fma_f16 v199, v191, v200, v199
	v_add_co_u32_e32 v191, vcc, s17, v162
	v_pk_fma_f16 v198, v192, v200, v198
	v_addc_co_u32_e32 v192, vcc, 0, v163, vcc
	v_add_co_u32_e32 v195, vcc, s17, v160
	v_addc_co_u32_e32 v196, vcc, 0, v161, vcc
	global_load_ushort v204, v[191:192], off
	global_load_dword v207, v[195:196], off offset:2
	v_mul_u32_u24_sdwa v200, v193, s39 dst_sel:DWORD dst_unused:UNUSED_PAD src0_sel:WORD_0 src1_sel:DWORD
	v_mul_u32_u24_sdwa v193, v193, s39 dst_sel:DWORD dst_unused:UNUSED_PAD src0_sel:WORD_1 src1_sel:DWORD
	s_waitcnt vmcnt(7)
	v_mul_u32_u24_e32 v191, 0x10001, v205
	s_waitcnt vmcnt(6)
	v_pk_lshrrev_b16 v192, 8, v206 op_sel:[1,0] op_sel_hi:[0,0]
	v_lshrrev_b32_e32 v195, 16, v192
	v_cvt_f16_i16_sdwa v192, sext(v192) dst_sel:DWORD dst_unused:UNUSED_PAD src0_sel:BYTE_0
	v_cvt_f16_i16_sdwa v195, sext(v195) dst_sel:DWORD dst_unused:UNUSED_PAD src0_sel:BYTE_0
	v_pack_b32_f16 v192, v192, v195
	v_pk_lshrrev_b16 v195, 8, v206 op_sel:[1,1] op_sel_hi:[0,1]
	v_lshrrev_b32_e32 v196, 16, v195
	v_cvt_f16_i16_sdwa v195, sext(v195) dst_sel:DWORD dst_unused:UNUSED_PAD src0_sel:BYTE_0
	v_cvt_f16_i16_sdwa v196, sext(v196) dst_sel:DWORD dst_unused:UNUSED_PAD src0_sel:BYTE_0
	v_pack_b32_f16 v195, v195, v196
	v_pk_mul_f16 v192, v192, v191
	v_pk_mul_f16 v191, v195, v191
	v_pk_fma_f16 v199, v191, v200, v199
	v_add_co_u32_e32 v191, vcc, s17, v158
	v_pk_fma_f16 v198, v192, v200, v198
	v_addc_co_u32_e32 v192, vcc, 0, v159, vcc
	v_add_co_u32_e32 v195, vcc, s17, v156
	v_addc_co_u32_e32 v196, vcc, 0, v157, vcc
	global_load_ushort v200, v[191:192], off
	global_load_dword v205, v[195:196], off offset:2
	s_waitcnt vmcnt(7)
	v_mul_u32_u24_e32 v191, 0x10001, v201
	s_waitcnt vmcnt(6)
	v_pk_lshrrev_b16 v192, 8, v197 op_sel:[1,0] op_sel_hi:[0,0]
	v_lshrrev_b32_e32 v195, 16, v192
	v_cvt_f16_i16_sdwa v192, sext(v192) dst_sel:DWORD dst_unused:UNUSED_PAD src0_sel:BYTE_0
	v_cvt_f16_i16_sdwa v195, sext(v195) dst_sel:DWORD dst_unused:UNUSED_PAD src0_sel:BYTE_0
	v_pack_b32_f16 v192, v192, v195
	v_pk_lshrrev_b16 v195, 8, v197 op_sel:[1,1] op_sel_hi:[0,1]
	v_lshrrev_b32_e32 v196, 16, v195
	v_cvt_f16_i16_sdwa v195, sext(v195) dst_sel:DWORD dst_unused:UNUSED_PAD src0_sel:BYTE_0
	v_cvt_f16_i16_sdwa v196, sext(v196) dst_sel:DWORD dst_unused:UNUSED_PAD src0_sel:BYTE_0
	v_pack_b32_f16 v195, v195, v196
	v_pk_mul_f16 v192, v192, v191
	v_pk_mul_f16 v191, v195, v191
	v_pk_fma_f16 v197, v192, v193, v198
	v_pk_fma_f16 v193, v191, v193, v199
	v_add_co_u32_e32 v191, vcc, s17, v154
	v_addc_co_u32_e32 v192, vcc, 0, v155, vcc
	v_add_co_u32_e32 v195, vcc, s17, v152
	v_addc_co_u32_e32 v196, vcc, 0, v153, vcc
	global_load_ushort v199, v[191:192], off
	s_nop 0
	global_load_dword v195, v[195:196], off offset:2
	v_mul_u32_u24_sdwa v198, v194, s39 dst_sel:DWORD dst_unused:UNUSED_PAD src0_sel:WORD_0 src1_sel:DWORD
	s_waitcnt vmcnt(7)
	v_mul_u32_u24_e32 v191, 0x10001, v202
	s_waitcnt vmcnt(6)
	v_pk_lshrrev_b16 v192, 8, v203 op_sel:[1,0] op_sel_hi:[0,0]
	v_lshrrev_b32_e32 v196, 16, v192
	v_cvt_f16_i16_sdwa v192, sext(v192) dst_sel:DWORD dst_unused:UNUSED_PAD src0_sel:BYTE_0
	v_cvt_f16_i16_sdwa v196, sext(v196) dst_sel:DWORD dst_unused:UNUSED_PAD src0_sel:BYTE_0
	v_pack_b32_f16 v192, v192, v196
	v_pk_lshrrev_b16 v196, 8, v203 op_sel:[1,1] op_sel_hi:[0,1]
	v_lshrrev_b32_e32 v201, 16, v196
	v_cvt_f16_i16_sdwa v196, sext(v196) dst_sel:DWORD dst_unused:UNUSED_PAD src0_sel:BYTE_0
	v_cvt_f16_i16_sdwa v201, sext(v201) dst_sel:DWORD dst_unused:UNUSED_PAD src0_sel:BYTE_0
	v_pack_b32_f16 v196, v196, v201
	v_pk_mul_f16 v192, v192, v191
	v_pk_mul_f16 v191, v196, v191
	v_pk_fma_f16 v196, v192, v198, v197
	v_pk_fma_f16 v197, v191, v198, v193
	v_add_co_u32_e32 v191, vcc, s17, v150
	v_addc_co_u32_e32 v192, vcc, 0, v151, vcc
	v_add_co_u32_e32 v193, vcc, s17, v148
	v_mul_u32_u24_sdwa v198, v194, s39 dst_sel:DWORD dst_unused:UNUSED_PAD src0_sel:WORD_1 src1_sel:DWORD
	v_addc_co_u32_e32 v194, vcc, 0, v149, vcc
	global_load_ushort v201, v[191:192], off
	global_load_dword v202, v[193:194], off offset:2
	s_waitcnt vmcnt(6)
	v_pk_lshrrev_b16 v192, 8, v207 op_sel:[1,0] op_sel_hi:[0,0]
	v_lshrrev_b32_e32 v193, 16, v192
	v_cvt_f16_i16_sdwa v192, sext(v192) dst_sel:DWORD dst_unused:UNUSED_PAD src0_sel:BYTE_0
	v_cvt_f16_i16_sdwa v193, sext(v193) dst_sel:DWORD dst_unused:UNUSED_PAD src0_sel:BYTE_0
	v_pack_b32_f16 v192, v192, v193
	v_pk_lshrrev_b16 v193, 8, v207 op_sel:[1,1] op_sel_hi:[0,1]
	v_lshrrev_b32_e32 v194, 16, v193
	v_cvt_f16_i16_sdwa v193, sext(v193) dst_sel:DWORD dst_unused:UNUSED_PAD src0_sel:BYTE_0
	v_cvt_f16_i16_sdwa v194, sext(v194) dst_sel:DWORD dst_unused:UNUSED_PAD src0_sel:BYTE_0
	v_mul_u32_u24_e32 v191, 0x10001, v204
	v_pack_b32_f16 v193, v193, v194
	v_pk_mul_f16 v192, v192, v191
	v_pk_mul_f16 v191, v193, v191
	v_pk_fma_f16 v197, v191, v198, v197
	v_add_co_u32_e32 v191, vcc, s17, v146
	v_pk_fma_f16 v196, v192, v198, v196
	v_addc_co_u32_e32 v192, vcc, 0, v147, vcc
	v_add_co_u32_e32 v193, vcc, s17, v144
	v_addc_co_u32_e32 v194, vcc, 0, v145, vcc
	global_load_ushort v203, v[191:192], off
	global_load_dword v204, v[193:194], off offset:2
	s_waitcnt lgkmcnt(2)
	v_mul_u32_u24_sdwa v198, v18, s39 dst_sel:DWORD dst_unused:UNUSED_PAD src0_sel:WORD_0 src1_sel:DWORD
	v_mul_u32_u24_sdwa v18, v18, s39 dst_sel:DWORD dst_unused:UNUSED_PAD src0_sel:WORD_1 src1_sel:DWORD
	s_waitcnt vmcnt(7)
	v_mul_u32_u24_e32 v191, 0x10001, v200
	s_waitcnt vmcnt(6)
	v_pk_lshrrev_b16 v192, 8, v205 op_sel:[1,0] op_sel_hi:[0,0]
	v_lshrrev_b32_e32 v193, 16, v192
	v_cvt_f16_i16_sdwa v192, sext(v192) dst_sel:DWORD dst_unused:UNUSED_PAD src0_sel:BYTE_0
	v_cvt_f16_i16_sdwa v193, sext(v193) dst_sel:DWORD dst_unused:UNUSED_PAD src0_sel:BYTE_0
	v_pack_b32_f16 v192, v192, v193
	v_pk_lshrrev_b16 v193, 8, v205 op_sel:[1,1] op_sel_hi:[0,1]
	v_lshrrev_b32_e32 v194, 16, v193
	v_cvt_f16_i16_sdwa v193, sext(v193) dst_sel:DWORD dst_unused:UNUSED_PAD src0_sel:BYTE_0
	v_cvt_f16_i16_sdwa v194, sext(v194) dst_sel:DWORD dst_unused:UNUSED_PAD src0_sel:BYTE_0
	v_pack_b32_f16 v193, v193, v194
	v_pk_mul_f16 v192, v192, v191
	v_pk_mul_f16 v191, v193, v191
	v_pk_fma_f16 v197, v191, v198, v197
	v_add_co_u32_e32 v191, vcc, s17, v142
	v_pk_fma_f16 v196, v192, v198, v196
	v_addc_co_u32_e32 v192, vcc, 0, v143, vcc
	v_add_co_u32_e32 v193, vcc, s17, v140
	v_addc_co_u32_e32 v194, vcc, 0, v141, vcc
	global_load_ushort v198, v[191:192], off
	global_load_dword v200, v[193:194], off offset:2
	s_waitcnt vmcnt(7)
	v_mul_u32_u24_e32 v191, 0x10001, v199
	s_waitcnt vmcnt(6)
	v_pk_lshrrev_b16 v192, 8, v195 op_sel:[1,0] op_sel_hi:[0,0]
	v_lshrrev_b32_e32 v193, 16, v192
	v_cvt_f16_i16_sdwa v192, sext(v192) dst_sel:DWORD dst_unused:UNUSED_PAD src0_sel:BYTE_0
	v_cvt_f16_i16_sdwa v193, sext(v193) dst_sel:DWORD dst_unused:UNUSED_PAD src0_sel:BYTE_0
	v_pack_b32_f16 v192, v192, v193
	v_pk_lshrrev_b16 v193, 8, v195 op_sel:[1,1] op_sel_hi:[0,1]
	v_lshrrev_b32_e32 v194, 16, v193
	v_cvt_f16_i16_sdwa v193, sext(v193) dst_sel:DWORD dst_unused:UNUSED_PAD src0_sel:BYTE_0
	v_cvt_f16_i16_sdwa v194, sext(v194) dst_sel:DWORD dst_unused:UNUSED_PAD src0_sel:BYTE_0
	v_pack_b32_f16 v193, v193, v194
	v_pk_mul_f16 v192, v192, v191
	v_pk_mul_f16 v191, v193, v191
	v_pk_fma_f16 v195, v192, v18, v196
	v_pk_fma_f16 v18, v191, v18, v197
	v_add_co_u32_e32 v191, vcc, s17, v138
	v_addc_co_u32_e32 v192, vcc, 0, v139, vcc
	v_add_co_u32_e32 v193, vcc, s17, v135
	v_addc_co_u32_e32 v194, vcc, 0, v136, vcc
	global_load_ushort v197, v[191:192], off
	s_nop 0
	global_load_dword v193, v[193:194], off offset:2
	v_mul_u32_u24_sdwa v196, v19, s39 dst_sel:DWORD dst_unused:UNUSED_PAD src0_sel:WORD_0 src1_sel:DWORD
	s_waitcnt vmcnt(7)
	v_mul_u32_u24_e32 v191, 0x10001, v201
	s_waitcnt vmcnt(6)
	v_pk_lshrrev_b16 v192, 8, v202 op_sel:[1,0] op_sel_hi:[0,0]
	v_lshrrev_b32_e32 v194, 16, v192
	v_cvt_f16_i16_sdwa v192, sext(v192) dst_sel:DWORD dst_unused:UNUSED_PAD src0_sel:BYTE_0
	v_cvt_f16_i16_sdwa v194, sext(v194) dst_sel:DWORD dst_unused:UNUSED_PAD src0_sel:BYTE_0
	v_pack_b32_f16 v192, v192, v194
	v_pk_lshrrev_b16 v194, 8, v202 op_sel:[1,1] op_sel_hi:[0,1]
	v_lshrrev_b32_e32 v199, 16, v194
	v_cvt_f16_i16_sdwa v194, sext(v194) dst_sel:DWORD dst_unused:UNUSED_PAD src0_sel:BYTE_0
	v_cvt_f16_i16_sdwa v199, sext(v199) dst_sel:DWORD dst_unused:UNUSED_PAD src0_sel:BYTE_0
	v_pack_b32_f16 v194, v194, v199
	v_pk_mul_f16 v192, v192, v191
	v_pk_mul_f16 v191, v194, v191
	v_pk_fma_f16 v194, v192, v196, v195
	v_pk_fma_f16 v195, v191, v196, v18
	v_add_co_u32_e32 v18, vcc, s17, v133
	v_mul_u32_u24_sdwa v196, v19, s39 dst_sel:DWORD dst_unused:UNUSED_PAD src0_sel:WORD_1 src1_sel:DWORD
	v_addc_co_u32_e32 v19, vcc, 0, v134, vcc
	v_add_co_u32_e32 v191, vcc, s17, v131
	v_addc_co_u32_e32 v192, vcc, 0, v132, vcc
	global_load_ushort v199, v[18:19], off
	global_load_dword v201, v[191:192], off offset:2
	s_waitcnt vmcnt(6)
	v_pk_lshrrev_b16 v19, 8, v204 op_sel:[1,0] op_sel_hi:[0,0]
	v_lshrrev_b32_e32 v191, 16, v19
	v_cvt_f16_i16_sdwa v19, sext(v19) dst_sel:DWORD dst_unused:UNUSED_PAD src0_sel:BYTE_0
	v_cvt_f16_i16_sdwa v191, sext(v191) dst_sel:DWORD dst_unused:UNUSED_PAD src0_sel:BYTE_0
	v_pack_b32_f16 v19, v19, v191
	v_pk_lshrrev_b16 v191, 8, v204 op_sel:[1,1] op_sel_hi:[0,1]
	v_lshrrev_b32_e32 v192, 16, v191
	v_cvt_f16_i16_sdwa v191, sext(v191) dst_sel:DWORD dst_unused:UNUSED_PAD src0_sel:BYTE_0
	v_cvt_f16_i16_sdwa v192, sext(v192) dst_sel:DWORD dst_unused:UNUSED_PAD src0_sel:BYTE_0
	v_mul_u32_u24_e32 v18, 0x10001, v203
	v_pack_b32_f16 v191, v191, v192
	v_pk_mul_f16 v19, v19, v18
	v_pk_mul_f16 v18, v191, v18
	v_pk_fma_f16 v195, v18, v196, v195
	v_add_co_u32_e32 v18, vcc, s17, v129
	v_pk_fma_f16 v194, v19, v196, v194
	v_addc_co_u32_e32 v19, vcc, 0, v130, vcc
	v_add_co_u32_e32 v191, vcc, s17, v127
	v_addc_co_u32_e32 v192, vcc, 0, v128, vcc
	global_load_ushort v202, v[18:19], off
	global_load_dword v203, v[191:192], off offset:2
	v_mul_u32_u24_sdwa v196, v20, s39 dst_sel:DWORD dst_unused:UNUSED_PAD src0_sel:WORD_0 src1_sel:DWORD
	s_waitcnt vmcnt(7)
	v_mul_u32_u24_e32 v18, 0x10001, v198
	s_waitcnt vmcnt(6)
	v_pk_lshrrev_b16 v19, 8, v200 op_sel:[1,0] op_sel_hi:[0,0]
	v_lshrrev_b32_e32 v191, 16, v19
	v_cvt_f16_i16_sdwa v19, sext(v19) dst_sel:DWORD dst_unused:UNUSED_PAD src0_sel:BYTE_0
	v_cvt_f16_i16_sdwa v191, sext(v191) dst_sel:DWORD dst_unused:UNUSED_PAD src0_sel:BYTE_0
	v_pack_b32_f16 v19, v19, v191
	v_pk_lshrrev_b16 v191, 8, v200 op_sel:[1,1] op_sel_hi:[0,1]
	v_lshrrev_b32_e32 v192, 16, v191
	v_cvt_f16_i16_sdwa v191, sext(v191) dst_sel:DWORD dst_unused:UNUSED_PAD src0_sel:BYTE_0
	v_cvt_f16_i16_sdwa v192, sext(v192) dst_sel:DWORD dst_unused:UNUSED_PAD src0_sel:BYTE_0
	v_pack_b32_f16 v191, v191, v192
	v_pk_mul_f16 v19, v19, v18
	v_pk_mul_f16 v18, v191, v18
	v_pk_fma_f16 v195, v18, v196, v195
	v_add_co_u32_e32 v18, vcc, s17, v125
	v_pk_fma_f16 v194, v19, v196, v194
	v_addc_co_u32_e32 v19, vcc, 0, v126, vcc
	v_add_co_u32_e32 v191, vcc, s17, v123
	v_addc_co_u32_e32 v192, vcc, 0, v124, vcc
	global_load_ushort v196, v[18:19], off
	global_load_dword v198, v[191:192], off offset:2
	v_mul_u32_u24_sdwa v20, v20, s39 dst_sel:DWORD dst_unused:UNUSED_PAD src0_sel:WORD_1 src1_sel:DWORD
	s_waitcnt vmcnt(7)
	v_mul_u32_u24_e32 v18, 0x10001, v197
	s_waitcnt vmcnt(6)
	v_pk_lshrrev_b16 v19, 8, v193 op_sel:[1,0] op_sel_hi:[0,0]
	v_lshrrev_b32_e32 v191, 16, v19
	v_cvt_f16_i16_sdwa v19, sext(v19) dst_sel:DWORD dst_unused:UNUSED_PAD src0_sel:BYTE_0
	v_cvt_f16_i16_sdwa v191, sext(v191) dst_sel:DWORD dst_unused:UNUSED_PAD src0_sel:BYTE_0
	v_pack_b32_f16 v19, v19, v191
	v_pk_lshrrev_b16 v191, 8, v193 op_sel:[1,1] op_sel_hi:[0,1]
	v_lshrrev_b32_e32 v192, 16, v191
	v_cvt_f16_i16_sdwa v191, sext(v191) dst_sel:DWORD dst_unused:UNUSED_PAD src0_sel:BYTE_0
	v_cvt_f16_i16_sdwa v192, sext(v192) dst_sel:DWORD dst_unused:UNUSED_PAD src0_sel:BYTE_0
	v_pack_b32_f16 v191, v191, v192
	v_pk_mul_f16 v19, v19, v18
	v_pk_mul_f16 v18, v191, v18
	v_pk_fma_f16 v193, v19, v20, v194
	v_pk_fma_f16 v20, v18, v20, v195
	v_add_co_u32_e32 v18, vcc, s17, v121
	v_addc_co_u32_e32 v19, vcc, 0, v122, vcc
	v_add_co_u32_e32 v191, vcc, s17, v119
	v_addc_co_u32_e32 v192, vcc, 0, v120, vcc
	global_load_ushort v195, v[18:19], off
	s_nop 0
	global_load_dword v191, v[191:192], off offset:2
	v_mul_u32_u24_sdwa v194, v21, s39 dst_sel:DWORD dst_unused:UNUSED_PAD src0_sel:WORD_0 src1_sel:DWORD
	s_waitcnt vmcnt(7)
	v_mul_u32_u24_e32 v18, 0x10001, v199
	s_waitcnt vmcnt(6)
	v_pk_lshrrev_b16 v19, 8, v201 op_sel:[1,0] op_sel_hi:[0,0]
	v_lshrrev_b32_e32 v192, 16, v19
	v_cvt_f16_i16_sdwa v19, sext(v19) dst_sel:DWORD dst_unused:UNUSED_PAD src0_sel:BYTE_0
	v_cvt_f16_i16_sdwa v192, sext(v192) dst_sel:DWORD dst_unused:UNUSED_PAD src0_sel:BYTE_0
	v_pack_b32_f16 v19, v19, v192
	v_pk_lshrrev_b16 v192, 8, v201 op_sel:[1,1] op_sel_hi:[0,1]
	v_lshrrev_b32_e32 v197, 16, v192
	v_cvt_f16_i16_sdwa v192, sext(v192) dst_sel:DWORD dst_unused:UNUSED_PAD src0_sel:BYTE_0
	v_cvt_f16_i16_sdwa v197, sext(v197) dst_sel:DWORD dst_unused:UNUSED_PAD src0_sel:BYTE_0
	v_pack_b32_f16 v192, v192, v197
	v_pk_mul_f16 v19, v19, v18
	v_pk_mul_f16 v18, v192, v18
	v_pk_fma_f16 v192, v19, v194, v193
	v_pk_fma_f16 v193, v18, v194, v20
	v_add_co_u32_e32 v18, vcc, s17, v117
	v_addc_co_u32_e32 v19, vcc, 0, v118, vcc
	v_add_co_u32_e32 v20, vcc, s17, v115
	v_mul_u32_u24_sdwa v194, v21, s39 dst_sel:DWORD dst_unused:UNUSED_PAD src0_sel:WORD_1 src1_sel:DWORD
	v_addc_co_u32_e32 v21, vcc, 0, v116, vcc
	global_load_ushort v197, v[18:19], off
	global_load_dword v199, v[20:21], off offset:2
	s_waitcnt vmcnt(6)
	v_pk_lshrrev_b16 v19, 8, v203 op_sel:[1,0] op_sel_hi:[0,0]
	v_lshrrev_b32_e32 v20, 16, v19
	v_cvt_f16_i16_sdwa v19, sext(v19) dst_sel:DWORD dst_unused:UNUSED_PAD src0_sel:BYTE_0
	v_cvt_f16_i16_sdwa v20, sext(v20) dst_sel:DWORD dst_unused:UNUSED_PAD src0_sel:BYTE_0
	v_pack_b32_f16 v19, v19, v20
	v_pk_lshrrev_b16 v20, 8, v203 op_sel:[1,1] op_sel_hi:[0,1]
	v_lshrrev_b32_e32 v21, 16, v20
	v_cvt_f16_i16_sdwa v20, sext(v20) dst_sel:DWORD dst_unused:UNUSED_PAD src0_sel:BYTE_0
	v_cvt_f16_i16_sdwa v21, sext(v21) dst_sel:DWORD dst_unused:UNUSED_PAD src0_sel:BYTE_0
	v_mul_u32_u24_e32 v18, 0x10001, v202
	v_pack_b32_f16 v20, v20, v21
	v_pk_mul_f16 v19, v19, v18
	v_pk_mul_f16 v18, v20, v18
	v_pk_fma_f16 v193, v18, v194, v193
	v_add_co_u32_e32 v18, vcc, s17, v113
	v_pk_fma_f16 v192, v19, v194, v192
	v_addc_co_u32_e32 v19, vcc, 0, v114, vcc
	v_add_co_u32_e32 v20, vcc, s17, v111
	v_addc_co_u32_e32 v21, vcc, 0, v112, vcc
	global_load_ushort v200, v[18:19], off
	global_load_dword v201, v[20:21], off offset:2
	s_waitcnt vmcnt(7)
	v_mul_u32_u24_e32 v18, 0x10001, v196
	s_waitcnt vmcnt(6)
	v_pk_lshrrev_b16 v19, 8, v198 op_sel:[1,0] op_sel_hi:[0,0]
	v_lshrrev_b32_e32 v20, 16, v19
	v_cvt_f16_i16_sdwa v19, sext(v19) dst_sel:DWORD dst_unused:UNUSED_PAD src0_sel:BYTE_0
	v_cvt_f16_i16_sdwa v20, sext(v20) dst_sel:DWORD dst_unused:UNUSED_PAD src0_sel:BYTE_0
	v_pack_b32_f16 v19, v19, v20
	v_pk_lshrrev_b16 v20, 8, v198 op_sel:[1,1] op_sel_hi:[0,1]
	v_lshrrev_b32_e32 v21, 16, v20
	v_cvt_f16_i16_sdwa v20, sext(v20) dst_sel:DWORD dst_unused:UNUSED_PAD src0_sel:BYTE_0
	v_cvt_f16_i16_sdwa v21, sext(v21) dst_sel:DWORD dst_unused:UNUSED_PAD src0_sel:BYTE_0
	v_pack_b32_f16 v20, v20, v21
	s_waitcnt lgkmcnt(1)
	v_mul_u32_u24_sdwa v194, v14, s39 dst_sel:DWORD dst_unused:UNUSED_PAD src0_sel:WORD_0 src1_sel:DWORD
	v_pk_mul_f16 v19, v19, v18
	v_pk_mul_f16 v18, v20, v18
	v_pk_fma_f16 v193, v18, v194, v193
	v_add_co_u32_e32 v18, vcc, s17, v109
	v_pk_fma_f16 v192, v19, v194, v192
	v_addc_co_u32_e32 v19, vcc, 0, v110, vcc
	v_add_co_u32_e32 v20, vcc, s17, v107
	v_addc_co_u32_e32 v21, vcc, 0, v108, vcc
	global_load_ushort v194, v[18:19], off
	global_load_dword v196, v[20:21], off offset:2
	s_waitcnt vmcnt(7)
	v_mul_u32_u24_e32 v18, 0x10001, v195
	s_waitcnt vmcnt(6)
	v_pk_lshrrev_b16 v19, 8, v191 op_sel:[1,0] op_sel_hi:[0,0]
	v_lshrrev_b32_e32 v20, 16, v19
	v_cvt_f16_i16_sdwa v19, sext(v19) dst_sel:DWORD dst_unused:UNUSED_PAD src0_sel:BYTE_0
	v_cvt_f16_i16_sdwa v20, sext(v20) dst_sel:DWORD dst_unused:UNUSED_PAD src0_sel:BYTE_0
	v_pack_b32_f16 v19, v19, v20
	v_pk_lshrrev_b16 v20, 8, v191 op_sel:[1,1] op_sel_hi:[0,1]
	v_lshrrev_b32_e32 v21, 16, v20
	v_cvt_f16_i16_sdwa v20, sext(v20) dst_sel:DWORD dst_unused:UNUSED_PAD src0_sel:BYTE_0
	v_cvt_f16_i16_sdwa v21, sext(v21) dst_sel:DWORD dst_unused:UNUSED_PAD src0_sel:BYTE_0
	v_pack_b32_f16 v20, v20, v21
	v_mul_u32_u24_sdwa v14, v14, s39 dst_sel:DWORD dst_unused:UNUSED_PAD src0_sel:WORD_1 src1_sel:DWORD
	v_pk_mul_f16 v19, v19, v18
	v_pk_mul_f16 v18, v20, v18
	v_pk_fma_f16 v191, v19, v14, v192
	v_pk_fma_f16 v14, v18, v14, v193
	v_add_co_u32_e32 v18, vcc, s17, v105
	v_addc_co_u32_e32 v19, vcc, 0, v106, vcc
	v_add_co_u32_e32 v20, vcc, s17, v103
	v_addc_co_u32_e32 v21, vcc, 0, v104, vcc
	global_load_ushort v193, v[18:19], off
	s_nop 0
	global_load_dword v20, v[20:21], off offset:2
	v_mul_u32_u24_sdwa v192, v15, s39 dst_sel:DWORD dst_unused:UNUSED_PAD src0_sel:WORD_0 src1_sel:DWORD
	s_waitcnt vmcnt(7)
	v_mul_u32_u24_e32 v18, 0x10001, v197
	s_waitcnt vmcnt(6)
	v_pk_lshrrev_b16 v19, 8, v199 op_sel:[1,0] op_sel_hi:[0,0]
	v_lshrrev_b32_e32 v21, 16, v19
	v_cvt_f16_i16_sdwa v19, sext(v19) dst_sel:DWORD dst_unused:UNUSED_PAD src0_sel:BYTE_0
	v_cvt_f16_i16_sdwa v21, sext(v21) dst_sel:DWORD dst_unused:UNUSED_PAD src0_sel:BYTE_0
	v_pack_b32_f16 v19, v19, v21
	v_pk_lshrrev_b16 v21, 8, v199 op_sel:[1,1] op_sel_hi:[0,1]
	v_lshrrev_b32_e32 v195, 16, v21
	v_cvt_f16_i16_sdwa v21, sext(v21) dst_sel:DWORD dst_unused:UNUSED_PAD src0_sel:BYTE_0
	v_cvt_f16_i16_sdwa v195, sext(v195) dst_sel:DWORD dst_unused:UNUSED_PAD src0_sel:BYTE_0
	v_pack_b32_f16 v21, v21, v195
	v_pk_mul_f16 v19, v19, v18
	v_pk_mul_f16 v18, v21, v18
	v_pk_fma_f16 v21, v19, v192, v191
	v_pk_fma_f16 v191, v18, v192, v14
	v_add_co_u32_e32 v14, vcc, s17, v101
	v_mul_u32_u24_sdwa v192, v15, s39 dst_sel:DWORD dst_unused:UNUSED_PAD src0_sel:WORD_1 src1_sel:DWORD
	v_addc_co_u32_e32 v15, vcc, 0, v102, vcc
	v_add_co_u32_e32 v18, vcc, s17, v99
	v_addc_co_u32_e32 v19, vcc, 0, v100, vcc
	global_load_ushort v195, v[14:15], off
	global_load_dword v197, v[18:19], off offset:2
	s_waitcnt vmcnt(6)
	v_pk_lshrrev_b16 v14, 8, v201 op_sel:[1,0] op_sel_hi:[0,0]
	v_lshrrev_b32_e32 v15, 16, v14
	v_cvt_f16_i16_sdwa v14, sext(v14) dst_sel:DWORD dst_unused:UNUSED_PAD src0_sel:BYTE_0
	v_cvt_f16_i16_sdwa v15, sext(v15) dst_sel:DWORD dst_unused:UNUSED_PAD src0_sel:BYTE_0
	v_pack_b32_f16 v199, v14, v15
	v_add_co_u32_e32 v14, vcc, s17, v97
	v_addc_co_u32_e32 v15, vcc, 0, v98, vcc
	v_add_co_u32_e32 v18, vcc, s17, v95
	v_mul_u32_u24_e32 v198, 0x10001, v200
	v_addc_co_u32_e32 v19, vcc, 0, v96, vcc
	global_load_ushort v200, v[14:15], off
	global_load_dword v202, v[18:19], off offset:2
	v_pk_lshrrev_b16 v15, 8, v201 op_sel:[1,1] op_sel_hi:[0,1]
	v_lshrrev_b32_e32 v18, 16, v15
	v_cvt_f16_i16_sdwa v15, sext(v15) dst_sel:DWORD dst_unused:UNUSED_PAD src0_sel:BYTE_0
	v_cvt_f16_i16_sdwa v18, sext(v18) dst_sel:DWORD dst_unused:UNUSED_PAD src0_sel:BYTE_0
	v_pk_mul_f16 v14, v199, v198
	v_pack_b32_f16 v15, v15, v18
	v_pk_mul_f16 v15, v15, v198
	v_pk_fma_f16 v21, v14, v192, v21
	v_pk_fma_f16 v191, v15, v192, v191
	s_waitcnt vmcnt(7)
	v_mul_u32_u24_e32 v194, 0x10001, v194
	s_waitcnt vmcnt(6)
	v_pk_lshrrev_b16 v14, 8, v196 op_sel:[1,0] op_sel_hi:[0,0]
	v_lshrrev_b32_e32 v15, 16, v14
	v_cvt_f16_i16_sdwa v14, sext(v14) dst_sel:DWORD dst_unused:UNUSED_PAD src0_sel:BYTE_0
	v_cvt_f16_i16_sdwa v15, sext(v15) dst_sel:DWORD dst_unused:UNUSED_PAD src0_sel:BYTE_0
	v_pack_b32_f16 v198, v14, v15
	v_add_co_u32_e32 v14, vcc, s17, v93
	v_addc_co_u32_e32 v15, vcc, 0, v94, vcc
	v_add_co_u32_e32 v18, vcc, s17, v91
	v_addc_co_u32_e32 v19, vcc, 0, v92, vcc
	global_load_ushort v199, v[14:15], off
	global_load_dword v201, v[18:19], off offset:2
	v_mul_u32_u24_sdwa v192, v16, s39 dst_sel:DWORD dst_unused:UNUSED_PAD src0_sel:WORD_0 src1_sel:DWORD
	v_pk_mul_f16 v14, v198, v194
	v_pk_lshrrev_b16 v15, 8, v196 op_sel:[1,1] op_sel_hi:[0,1]
	v_pk_fma_f16 v14, v14, v192, v21
	v_lshrrev_b32_e32 v18, 16, v15
	v_cvt_f16_i16_sdwa v15, sext(v15) dst_sel:DWORD dst_unused:UNUSED_PAD src0_sel:BYTE_0
	v_cvt_f16_i16_sdwa v18, sext(v18) dst_sel:DWORD dst_unused:UNUSED_PAD src0_sel:BYTE_0
	v_pack_b32_f16 v15, v15, v18
	v_pk_mul_f16 v15, v15, v194
	v_mul_u32_u24_sdwa v16, v16, s39 dst_sel:DWORD dst_unused:UNUSED_PAD src0_sel:WORD_1 src1_sel:DWORD
	s_waitcnt vmcnt(7)
	v_mul_u32_u24_e32 v18, 0x10001, v193
	s_waitcnt vmcnt(6)
	v_pk_lshrrev_b16 v19, 8, v20 op_sel:[1,0] op_sel_hi:[0,0]
	v_lshrrev_b32_e32 v21, 16, v19
	v_cvt_f16_i16_sdwa v19, sext(v19) dst_sel:DWORD dst_unused:UNUSED_PAD src0_sel:BYTE_0
	v_cvt_f16_i16_sdwa v21, sext(v21) dst_sel:DWORD dst_unused:UNUSED_PAD src0_sel:BYTE_0
	v_pk_lshrrev_b16 v20, 8, v20 op_sel:[1,1] op_sel_hi:[0,1]
	v_pack_b32_f16 v19, v19, v21
	v_lshrrev_b32_e32 v21, 16, v20
	v_cvt_f16_i16_sdwa v20, sext(v20) dst_sel:DWORD dst_unused:UNUSED_PAD src0_sel:BYTE_0
	v_cvt_f16_i16_sdwa v21, sext(v21) dst_sel:DWORD dst_unused:UNUSED_PAD src0_sel:BYTE_0
	v_pk_mul_f16 v19, v19, v18
	v_pack_b32_f16 v20, v20, v21
	v_pk_fma_f16 v15, v15, v192, v191
	v_pk_mul_f16 v18, v20, v18
	v_pk_fma_f16 v20, v19, v16, v14
	v_add_co_u32_e32 v14, vcc, s17, v89
	v_pk_fma_f16 v16, v18, v16, v15
	v_addc_co_u32_e32 v15, vcc, 0, v90, vcc
	v_add_co_u32_e32 v18, vcc, s17, v87
	v_addc_co_u32_e32 v19, vcc, 0, v88, vcc
	global_load_ushort v191, v[14:15], off
	s_nop 0
	global_load_dword v18, v[18:19], off offset:2
	v_mul_u32_u24_sdwa v21, v17, s39 dst_sel:DWORD dst_unused:UNUSED_PAD src0_sel:WORD_0 src1_sel:DWORD
	s_waitcnt vmcnt(7)
	v_mul_u32_u24_e32 v14, 0x10001, v195
	s_waitcnt vmcnt(6)
	v_pk_lshrrev_b16 v15, 8, v197 op_sel:[1,0] op_sel_hi:[0,0]
	v_lshrrev_b32_e32 v19, 16, v15
	v_cvt_f16_i16_sdwa v15, sext(v15) dst_sel:DWORD dst_unused:UNUSED_PAD src0_sel:BYTE_0
	v_cvt_f16_i16_sdwa v19, sext(v19) dst_sel:DWORD dst_unused:UNUSED_PAD src0_sel:BYTE_0
	v_pack_b32_f16 v15, v15, v19
	v_pk_lshrrev_b16 v19, 8, v197 op_sel:[1,1] op_sel_hi:[0,1]
	v_lshrrev_b32_e32 v192, 16, v19
	v_cvt_f16_i16_sdwa v19, sext(v19) dst_sel:DWORD dst_unused:UNUSED_PAD src0_sel:BYTE_0
	v_cvt_f16_i16_sdwa v192, sext(v192) dst_sel:DWORD dst_unused:UNUSED_PAD src0_sel:BYTE_0
	v_pack_b32_f16 v19, v19, v192
	v_pk_mul_f16 v15, v15, v14
	v_pk_mul_f16 v14, v19, v14
	v_pk_fma_f16 v19, v15, v21, v20
	v_pk_fma_f16 v20, v14, v21, v16
	s_waitcnt vmcnt(5)
	v_mul_u32_u24_e32 v192, 0x10001, v200
	s_waitcnt vmcnt(4)
	v_pk_lshrrev_b16 v14, 8, v202 op_sel:[1,0] op_sel_hi:[0,0]
	v_lshrrev_b32_e32 v15, 16, v14
	v_cvt_f16_i16_sdwa v14, sext(v14) dst_sel:DWORD dst_unused:UNUSED_PAD src0_sel:BYTE_0
	v_cvt_f16_i16_sdwa v15, sext(v15) dst_sel:DWORD dst_unused:UNUSED_PAD src0_sel:BYTE_0
	v_pack_b32_f16 v14, v14, v15
	v_pk_mul_f16 v193, v14, v192
	v_pk_lshrrev_b16 v14, 8, v202 op_sel:[1,1] op_sel_hi:[0,1]
	v_lshrrev_b32_e32 v194, 16, v14
	v_cvt_f16_i16_sdwa v195, sext(v14) dst_sel:DWORD dst_unused:UNUSED_PAD src0_sel:BYTE_0
	v_add_co_u32_e32 v14, vcc, s17, v85
	v_addc_co_u32_e32 v15, vcc, 0, v86, vcc
	v_add_co_u32_e32 v16, vcc, s17, v83
	v_mul_u32_u24_sdwa v21, v17, s39 dst_sel:DWORD dst_unused:UNUSED_PAD src0_sel:WORD_1 src1_sel:DWORD
	v_addc_co_u32_e32 v17, vcc, 0, v84, vcc
	global_load_ushort v196, v[14:15], off
	global_load_dword v197, v[16:17], off offset:2
	v_cvt_f16_i16_sdwa v14, sext(v194) dst_sel:DWORD dst_unused:UNUSED_PAD src0_sel:BYTE_0
	v_pack_b32_f16 v14, v195, v14
	v_pk_mul_f16 v14, v14, v192
	v_pk_fma_f16 v20, v14, v21, v20
	s_waitcnt vmcnt(5)
	v_mul_u32_u24_e32 v192, 0x10001, v199
	s_waitcnt vmcnt(4)
	v_pk_lshrrev_b16 v14, 8, v201 op_sel:[1,0] op_sel_hi:[0,0]
	v_lshrrev_b32_e32 v15, 16, v14
	v_cvt_f16_i16_sdwa v14, sext(v14) dst_sel:DWORD dst_unused:UNUSED_PAD src0_sel:BYTE_0
	v_cvt_f16_i16_sdwa v15, sext(v15) dst_sel:DWORD dst_unused:UNUSED_PAD src0_sel:BYTE_0
	v_pack_b32_f16 v14, v14, v15
	v_pk_fma_f16 v19, v193, v21, v19
	v_pk_mul_f16 v193, v14, v192
	v_pk_lshrrev_b16 v14, 8, v201 op_sel:[1,1] op_sel_hi:[0,1]
	v_lshrrev_b32_e32 v194, 16, v14
	v_cvt_f16_i16_sdwa v195, sext(v14) dst_sel:DWORD dst_unused:UNUSED_PAD src0_sel:BYTE_0
	v_add_co_u32_e32 v14, vcc, s17, v81
	v_addc_co_u32_e32 v15, vcc, 0, v82, vcc
	v_add_co_u32_e32 v16, vcc, s17, v79
	v_addc_co_u32_e32 v17, vcc, 0, v80, vcc
	global_load_ushort v198, v[14:15], off
	global_load_dword v199, v[16:17], off offset:2
	v_cvt_f16_i16_sdwa v14, sext(v194) dst_sel:DWORD dst_unused:UNUSED_PAD src0_sel:BYTE_0
	v_pack_b32_f16 v14, v195, v14
	s_waitcnt lgkmcnt(0)
	v_mul_u32_u24_sdwa v21, v10, s39 dst_sel:DWORD dst_unused:UNUSED_PAD src0_sel:WORD_0 src1_sel:DWORD
	v_pk_mul_f16 v14, v14, v192
	v_pk_fma_f16 v20, v14, v21, v20
	v_add_co_u32_e32 v14, vcc, s17, v77
	v_addc_co_u32_e32 v15, vcc, 0, v78, vcc
	v_add_co_u32_e32 v16, vcc, s17, v75
	v_pk_fma_f16 v19, v193, v21, v19
	v_addc_co_u32_e32 v17, vcc, 0, v76, vcc
	global_load_ushort v21, v[14:15], off
	global_load_dword v192, v[16:17], off offset:2
	s_waitcnt vmcnt(7)
	v_mul_u32_u24_e32 v191, 0x10001, v191
	s_waitcnt vmcnt(6)
	v_pk_lshrrev_b16 v14, 8, v18 op_sel:[1,0] op_sel_hi:[0,0]
	v_lshrrev_b32_e32 v15, 16, v14
	v_cvt_f16_i16_sdwa v14, sext(v14) dst_sel:DWORD dst_unused:UNUSED_PAD src0_sel:BYTE_0
	v_cvt_f16_i16_sdwa v15, sext(v15) dst_sel:DWORD dst_unused:UNUSED_PAD src0_sel:BYTE_0
	v_pack_b32_f16 v193, v14, v15
	v_add_co_u32_e32 v14, vcc, s17, v73
	v_addc_co_u32_e32 v15, vcc, 0, v74, vcc
	v_add_co_u32_e32 v16, vcc, s17, v71
	v_addc_co_u32_e32 v17, vcc, 0, v72, vcc
	global_load_ushort v194, v[14:15], off
	global_load_dword v195, v[16:17], off offset:2
	v_pk_lshrrev_b16 v14, 8, v18 op_sel:[1,1] op_sel_hi:[0,1]
	v_lshrrev_b32_e32 v15, 16, v14
	v_cvt_f16_i16_sdwa v14, sext(v14) dst_sel:DWORD dst_unused:UNUSED_PAD src0_sel:BYTE_0
	v_cvt_f16_i16_sdwa v15, sext(v15) dst_sel:DWORD dst_unused:UNUSED_PAD src0_sel:BYTE_0
	v_pack_b32_f16 v18, v14, v15
	v_add_co_u32_e32 v14, vcc, s17, v69
	v_addc_co_u32_e32 v15, vcc, 0, v70, vcc
	v_add_co_u32_e32 v16, vcc, s17, v67
	v_addc_co_u32_e32 v17, vcc, 0, v68, vcc
	global_load_ushort v200, v[14:15], off
	global_load_dword v201, v[16:17], off offset:2
	v_mul_u32_u24_sdwa v10, v10, s39 dst_sel:DWORD dst_unused:UNUSED_PAD src0_sel:WORD_1 src1_sel:DWORD
	v_pk_mul_f16 v193, v193, v191
	v_pk_mul_f16 v14, v18, v191
	v_pk_fma_f16 v18, v193, v10, v19
	v_pk_fma_f16 v10, v14, v10, v20
	v_add_co_u32_e32 v14, vcc, s17, v65
	v_addc_co_u32_e32 v15, vcc, 0, v66, vcc
	v_add_co_u32_e32 v16, vcc, s17, v63
	v_addc_co_u32_e32 v17, vcc, 0, v64, vcc
	global_load_ushort v14, v[14:15], off
	s_nop 0
	global_load_dword v15, v[16:17], off offset:2
	s_waitcnt vmcnt(10)
	v_pk_lshrrev_b16 v191, 8, v197 op_sel:[1,0] op_sel_hi:[0,0]
	v_lshrrev_b32_e32 v16, 16, v191
	v_cvt_f16_i16_sdwa v17, sext(v191) dst_sel:DWORD dst_unused:UNUSED_PAD src0_sel:BYTE_0
	v_cvt_f16_i16_sdwa v16, sext(v16) dst_sel:DWORD dst_unused:UNUSED_PAD src0_sel:BYTE_0
	v_pack_b32_f16 v16, v17, v16
	v_pk_lshrrev_b16 v17, 8, v197 op_sel:[1,1] op_sel_hi:[0,1]
	v_lshrrev_b32_e32 v191, 16, v17
	v_mul_u32_u24_e32 v20, 0x10001, v196
	v_cvt_f16_i16_sdwa v17, sext(v17) dst_sel:DWORD dst_unused:UNUSED_PAD src0_sel:BYTE_0
	v_cvt_f16_i16_sdwa v191, sext(v191) dst_sel:DWORD dst_unused:UNUSED_PAD src0_sel:BYTE_0
	v_mul_u32_u24_sdwa v19, v11, s39 dst_sel:DWORD dst_unused:UNUSED_PAD src0_sel:WORD_0 src1_sel:DWORD
	v_pk_mul_f16 v16, v16, v20
	v_pack_b32_f16 v17, v17, v191
	v_pk_mul_f16 v17, v17, v20
	v_pk_fma_f16 v16, v16, v19, v18
	v_pk_fma_f16 v10, v17, v19, v10
	v_mul_u32_u24_sdwa v11, v11, s39 dst_sel:DWORD dst_unused:UNUSED_PAD src0_sel:WORD_1 src1_sel:DWORD
	v_add_co_u32_e32 v37, vcc, s19, v37
	v_addc_co_u32_e32 v38, vcc, 0, v38, vcc
	s_waitcnt vmcnt(8)
	v_pk_lshrrev_b16 v18, 8, v199 op_sel:[1,0] op_sel_hi:[0,0]
	v_lshrrev_b32_e32 v19, 16, v18
	v_cvt_f16_i16_sdwa v18, sext(v18) dst_sel:DWORD dst_unused:UNUSED_PAD src0_sel:BYTE_0
	v_cvt_f16_i16_sdwa v19, sext(v19) dst_sel:DWORD dst_unused:UNUSED_PAD src0_sel:BYTE_0
	v_pack_b32_f16 v18, v18, v19
	v_pk_lshrrev_b16 v19, 8, v199 op_sel:[1,1] op_sel_hi:[0,1]
	v_mul_u32_u24_e32 v17, 0x10001, v198
	v_lshrrev_b32_e32 v20, 16, v19
	v_pk_mul_f16 v18, v18, v17
	v_cvt_f16_i16_sdwa v19, sext(v19) dst_sel:DWORD dst_unused:UNUSED_PAD src0_sel:BYTE_0
	v_cvt_f16_i16_sdwa v20, sext(v20) dst_sel:DWORD dst_unused:UNUSED_PAD src0_sel:BYTE_0
	v_pack_b32_f16 v19, v19, v20
	v_pk_fma_f16 v16, v18, v11, v16
	v_pk_mul_f16 v17, v19, v17
	v_pk_fma_f16 v10, v17, v11, v10
	s_waitcnt vmcnt(6)
	v_pk_lshrrev_b16 v18, 8, v192 op_sel:[1,0] op_sel_hi:[0,0]
	v_lshrrev_b32_e32 v19, 16, v18
	v_cvt_f16_i16_sdwa v18, sext(v18) dst_sel:DWORD dst_unused:UNUSED_PAD src0_sel:BYTE_0
	v_cvt_f16_i16_sdwa v19, sext(v19) dst_sel:DWORD dst_unused:UNUSED_PAD src0_sel:BYTE_0
	v_pack_b32_f16 v18, v18, v19
	v_pk_lshrrev_b16 v19, 8, v192 op_sel:[1,1] op_sel_hi:[0,1]
	v_lshrrev_b32_e32 v20, 16, v19
	v_cvt_f16_i16_sdwa v19, sext(v19) dst_sel:DWORD dst_unused:UNUSED_PAD src0_sel:BYTE_0
	v_cvt_f16_i16_sdwa v20, sext(v20) dst_sel:DWORD dst_unused:UNUSED_PAD src0_sel:BYTE_0
	v_mul_u32_u24_e32 v17, 0x10001, v21
	v_pack_b32_f16 v19, v19, v20
	v_mul_u32_u24_sdwa v11, v12, s39 dst_sel:DWORD dst_unused:UNUSED_PAD src0_sel:WORD_0 src1_sel:DWORD
	v_pk_mul_f16 v18, v18, v17
	v_pk_mul_f16 v17, v19, v17
	v_pk_fma_f16 v10, v17, v11, v10
	s_waitcnt vmcnt(4)
	v_pk_lshrrev_b16 v17, 8, v195 op_sel:[1,0] op_sel_hi:[0,0]
	v_pk_fma_f16 v16, v18, v11, v16
	v_lshrrev_b32_e32 v18, 16, v17
	v_cvt_f16_i16_sdwa v17, sext(v17) dst_sel:DWORD dst_unused:UNUSED_PAD src0_sel:BYTE_0
	v_cvt_f16_i16_sdwa v18, sext(v18) dst_sel:DWORD dst_unused:UNUSED_PAD src0_sel:BYTE_0
	v_pack_b32_f16 v17, v17, v18
	v_pk_lshrrev_b16 v18, 8, v195 op_sel:[1,1] op_sel_hi:[0,1]
	v_mul_u32_u24_sdwa v11, v12, s39 dst_sel:DWORD dst_unused:UNUSED_PAD src0_sel:WORD_1 src1_sel:DWORD
	v_mul_u32_u24_e32 v12, 0x10001, v194
	v_lshrrev_b32_e32 v19, 16, v18
	v_pk_mul_f16 v17, v17, v12
	v_cvt_f16_i16_sdwa v18, sext(v18) dst_sel:DWORD dst_unused:UNUSED_PAD src0_sel:BYTE_0
	v_cvt_f16_i16_sdwa v19, sext(v19) dst_sel:DWORD dst_unused:UNUSED_PAD src0_sel:BYTE_0
	v_pack_b32_f16 v18, v18, v19
	v_pk_fma_f16 v16, v17, v11, v16
	s_waitcnt vmcnt(2)
	v_pk_lshrrev_b16 v17, 8, v201 op_sel:[1,0] op_sel_hi:[0,0]
	v_pk_mul_f16 v12, v18, v12
	v_lshrrev_b32_e32 v18, 16, v17
	v_cvt_f16_i16_sdwa v17, sext(v17) dst_sel:DWORD dst_unused:UNUSED_PAD src0_sel:BYTE_0
	v_cvt_f16_i16_sdwa v18, sext(v18) dst_sel:DWORD dst_unused:UNUSED_PAD src0_sel:BYTE_0
	v_pack_b32_f16 v17, v17, v18
	v_pk_lshrrev_b16 v18, 8, v201 op_sel:[1,1] op_sel_hi:[0,1]
	v_lshrrev_b32_e32 v19, 16, v18
	v_cvt_f16_i16_sdwa v18, sext(v18) dst_sel:DWORD dst_unused:UNUSED_PAD src0_sel:BYTE_0
	v_cvt_f16_i16_sdwa v19, sext(v19) dst_sel:DWORD dst_unused:UNUSED_PAD src0_sel:BYTE_0
	v_pk_fma_f16 v10, v12, v11, v10
	v_mul_u32_u24_e32 v12, 0x10001, v200
	v_pack_b32_f16 v18, v18, v19
	v_mul_u32_u24_sdwa v11, v13, s39 dst_sel:DWORD dst_unused:UNUSED_PAD src0_sel:WORD_0 src1_sel:DWORD
	v_pk_mul_f16 v17, v17, v12
	v_pk_mul_f16 v12, v18, v12
	v_pk_fma_f16 v10, v12, v11, v10
	v_mul_u32_u24_sdwa v12, v13, s39 dst_sel:DWORD dst_unused:UNUSED_PAD src0_sel:WORD_1 src1_sel:DWORD
	s_waitcnt vmcnt(0)
	v_pk_lshrrev_b16 v13, 8, v15 op_sel:[1,0] op_sel_hi:[0,0]
	v_pk_fma_f16 v16, v17, v11, v16
	v_mul_u32_u24_e32 v11, 0x10001, v14
	v_lshrrev_b32_e32 v14, 16, v13
	v_cvt_f16_i16_sdwa v13, sext(v13) dst_sel:DWORD dst_unused:UNUSED_PAD src0_sel:BYTE_0
	v_cvt_f16_i16_sdwa v14, sext(v14) dst_sel:DWORD dst_unused:UNUSED_PAD src0_sel:BYTE_0
	v_pack_b32_f16 v13, v13, v14
	v_pk_lshrrev_b16 v14, 8, v15 op_sel:[1,1] op_sel_hi:[0,1]
	v_lshrrev_b32_e32 v15, 16, v14
	v_cvt_f16_i16_sdwa v14, sext(v14) dst_sel:DWORD dst_unused:UNUSED_PAD src0_sel:BYTE_0
	v_cvt_f16_i16_sdwa v15, sext(v15) dst_sel:DWORD dst_unused:UNUSED_PAD src0_sel:BYTE_0
	v_pack_b32_f16 v14, v14, v15
	v_pk_mul_f16 v13, v13, v11
	v_pk_mul_f16 v14, v14, v11
	v_pk_fma_f16 v11, v13, v12, v16
	v_pk_fma_f16 v10, v14, v12, v10
	v_mov_b32_e32 v12, s23
	v_add_co_u32_e32 v30, vcc, s22, v30
	v_addc_co_u32_e32 v31, vcc, v31, v12, vcc
	v_add_co_u32_e32 v39, vcc, s19, v39
	v_addc_co_u32_e32 v40, vcc, 0, v40, vcc
	;; [unrolled: 2-line block ×72, first 2 shown]
	s_cbranch_scc1 .LBB14_22
; %bb.20:                               ;   in Loop: Header=BB14_11 Depth=1
	v_mov_b32_e32 v12, v190
	s_branch .LBB14_11
.LBB14_21:
	v_mov_b32_e32 v11, 0
	v_mov_b32_e32 v190, 0xfeffffff
	;; [unrolled: 1-line block ×3, first 2 shown]
.LBB14_22:
	s_cmp_lg_u64 s[24:25], 0
	v_or_b32_e32 v2, s7, v1
	s_cselect_b64 s[2:3], -1, 0
	v_cmp_eq_u32_e32 vcc, 0, v2
	s_and_b64 s[8:9], vcc, s[2:3]
	s_and_saveexec_b64 s[2:3], s[8:9]
	s_cbranch_execz .LBB14_24
; %bb.23:
	s_lshl_b64 s[8:9], s[40:41], 2
	s_add_u32 s8, s24, s8
	s_addc_u32 s9, s25, s9
	s_load_dword s8, s[8:9], 0x0
	v_max_f32_e32 v2, v190, v190
	s_mov_b32 s9, 0x3fb8aa3b
	s_mov_b32 s10, 0x42b17218
	s_waitcnt lgkmcnt(0)
	v_max_f32_e64 v3, s8, s8
	v_max_f32_e32 v2, v2, v3
	v_sub_f32_e32 v3, s8, v2
	v_mul_f32_e32 v4, 0x3fb8aa3b, v3
	v_fma_f32 v5, v3, s9, -v4
	v_rndne_f32_e32 v6, v4
	v_fmac_f32_e32 v5, 0x32a5705f, v3
	v_sub_f32_e32 v4, v4, v6
	v_add_f32_e32 v4, v4, v5
	v_cvt_i32_f32_e32 v5, v6
	v_exp_f32_e32 v4, v4
	s_mov_b32 s8, 0xc2ce8ed0
	v_cmp_ngt_f32_e32 vcc, s8, v3
	v_ldexp_f32 v4, v4, v5
	v_sub_f32_e32 v5, v190, v2
	v_mul_f32_e32 v6, 0x3fb8aa3b, v5
	v_fma_f32 v7, v5, s9, -v6
	v_rndne_f32_e32 v8, v6
	v_fmac_f32_e32 v7, 0x32a5705f, v5
	v_sub_f32_e32 v6, v6, v8
	v_add_f32_e32 v6, v6, v7
	v_exp_f32_e32 v6, v6
	v_cvt_i32_f32_e32 v7, v8
	v_cndmask_b32_e32 v4, 0, v4, vcc
	v_mov_b32_e32 v8, 0x7f800000
	v_cmp_nlt_f32_e32 vcc, s10, v3
	v_cndmask_b32_e32 v3, v8, v4, vcc
	v_ldexp_f32 v4, v6, v7
	v_cmp_ngt_f32_e32 vcc, s8, v5
	v_cndmask_b32_e32 v4, 0, v4, vcc
	v_cmp_nlt_f32_e32 vcc, s10, v5
	v_cndmask_b32_e32 v4, v8, v4, vcc
	v_cvt_f16_f32_e32 v5, v4
	v_cmp_eq_u32_e32 vcc, 0, v0
	v_cndmask_b32_e32 v3, 0, v3, vcc
	v_fmac_f32_e32 v3, v137, v4
	v_mul_u32_u24_e32 v4, 0x10001, v5
	v_pk_mul_f16 v11, v11, v4
	v_pk_mul_f16 v10, v10, v4
	v_mov_b32_e32 v137, v3
	v_mov_b32_e32 v190, v2
.LBB14_24:
	s_or_b64 exec, exec, s[2:3]
	s_and_saveexec_b64 s[2:3], s[0:1]
; %bb.25:
	v_mov_b32_e32 v2, 0xfeffffff
	v_mov_b32_e32 v3, 0
	v_add_u32_e32 v4, 0x400, v36
	ds_write2_b32 v4, v2, v3 offset1:32
; %bb.26:
	s_or_b64 exec, exec, s[2:3]
	v_cmp_eq_u32_e32 vcc, 0, v0
	v_lshlrev_b32_e32 v4, 2, v1
	s_waitcnt lgkmcnt(0)
	s_barrier
	s_and_saveexec_b64 s[0:1], vcc
; %bb.27:
	ds_write_b32 v4, v190 offset:1024
; %bb.28:
	s_or_b64 exec, exec, s[0:1]
	v_mbcnt_hi_u32_b32 v2, -1, v32
	s_waitcnt lgkmcnt(0)
	s_barrier
	v_and_b32_e32 v3, 0x60, v2
	ds_read_b32 v6, v36 offset:1024
	v_add_u32_e32 v8, 32, v3
	v_xor_b32_e32 v3, 16, v2
	v_cmp_lt_i32_e64 s[0:1], v3, v8
	v_cndmask_b32_e64 v3, v2, v3, s[0:1]
	v_lshlrev_b32_e32 v3, 2, v3
	s_waitcnt lgkmcnt(0)
	ds_bpermute_b32 v7, v3, v6
	v_xor_b32_e32 v5, 8, v2
	v_cmp_lt_i32_e64 s[0:1], v5, v8
	v_cndmask_b32_e64 v5, v2, v5, s[0:1]
	v_max_f32_e32 v6, v6, v6
	s_waitcnt lgkmcnt(0)
	v_max_f32_e32 v7, v7, v7
	v_lshlrev_b32_e32 v5, 2, v5
	v_max_f32_e32 v7, v6, v7
	ds_bpermute_b32 v9, v5, v7
	v_xor_b32_e32 v6, 4, v2
	v_cmp_lt_i32_e64 s[0:1], v6, v8
	v_cndmask_b32_e64 v6, v2, v6, s[0:1]
	v_lshlrev_b32_e32 v6, 2, v6
	s_waitcnt lgkmcnt(0)
	v_max_f32_e32 v9, v9, v9
	v_max_f32_e32 v9, v7, v9
	ds_bpermute_b32 v12, v6, v9
	v_xor_b32_e32 v7, 2, v2
	v_cmp_lt_i32_e64 s[0:1], v7, v8
	v_cndmask_b32_e64 v7, v2, v7, s[0:1]
	v_lshlrev_b32_e32 v7, 2, v7
	s_waitcnt lgkmcnt(0)
	v_max_f32_e32 v12, v12, v12
	;; [unrolled: 8-line block ×3, first 2 shown]
	v_max_f32_e32 v2, v9, v2
	ds_bpermute_b32 v9, v8, v2
	s_mov_b32 s0, 0x3fb8aa3b
	s_load_dword s3, s[4:5], 0xd4
	s_waitcnt lgkmcnt(0)
	v_max_f32_e32 v9, v9, v9
	v_max_f32_e32 v2, v2, v9
	v_sub_f32_e32 v9, v190, v2
	v_mul_f32_e32 v12, 0x3fb8aa3b, v9
	v_fma_f32 v13, v9, s0, -v12
	v_rndne_f32_e32 v14, v12
	v_fmac_f32_e32 v13, 0x32a5705f, v9
	v_sub_f32_e32 v12, v12, v14
	v_add_f32_e32 v12, v12, v13
	v_exp_f32_e32 v12, v12
	v_cvt_i32_f32_e32 v13, v14
	s_mov_b32 s0, 0xc2ce8ed0
	v_cmp_ngt_f32_e64 s[0:1], s0, v9
	v_lshlrev_b32_e32 v14, 3, v0
	v_ldexp_f32 v12, v12, v13
	v_cndmask_b32_e64 v12, 0, v12, s[0:1]
	s_mov_b32 s0, 0x42b17218
	v_mov_b32_e32 v13, 0x7f800000
	v_cmp_nlt_f32_e64 s[0:1], s0, v9
	v_cndmask_b32_e64 v9, v13, v12, s[0:1]
	v_mul_f32_e32 v12, v137, v9
	ds_bpermute_b32 v12, v3, v12
	v_lshl_add_u32 v1, v1, 8, v14
	s_waitcnt lgkmcnt(0)
	v_fmac_f32_e32 v12, v137, v9
	ds_bpermute_b32 v13, v5, v12
	v_cvt_f16_f32_e32 v9, v9
	s_waitcnt lgkmcnt(0)
	v_add_f32_e32 v12, v12, v13
	ds_bpermute_b32 v13, v6, v12
	v_mul_u32_u24_e32 v15, 0x10001, v9
	v_pk_mul_f16 v11, v11, v15
	s_waitcnt lgkmcnt(0)
	v_add_f32_e32 v12, v12, v13
	ds_bpermute_b32 v13, v7, v12
	s_waitcnt lgkmcnt(0)
	v_add_f32_e32 v0, v12, v13
	ds_bpermute_b32 v9, v8, v0
	v_pk_mul_f16 v12, v10, v15
	ds_write_b64 v1, v[11:12]
	s_and_saveexec_b64 s[0:1], vcc
	s_cbranch_execz .LBB14_30
; %bb.29:
	s_waitcnt lgkmcnt(1)
	v_add_f32_e32 v0, v0, v9
	ds_write_b32 v4, v0 offset:1152
.LBB14_30:
	s_or_b64 exec, exec, s[0:1]
	s_waitcnt lgkmcnt(0)
	s_barrier
	ds_read_b32 v0, v36 offset:1152
	ds_read_u16 v1, v35
	ds_read_u16 v4, v35 offset:256
	ds_read_u16 v9, v35 offset:512
	;; [unrolled: 1-line block ×3, first 2 shown]
	s_waitcnt lgkmcnt(4)
	ds_bpermute_b32 v3, v3, v0
	s_waitcnt lgkmcnt(4)
	v_cvt_f32_f16_e32 v1, v1
	s_waitcnt lgkmcnt(3)
	v_cvt_f32_f16_e32 v4, v4
	s_waitcnt lgkmcnt(0)
	v_add_f32_e32 v0, v0, v3
	ds_bpermute_b32 v3, v5, v0
	v_cvt_f32_f16_e32 v5, v9
	v_add_f32_e32 v1, 0, v1
	v_add_f32_e32 v1, v1, v4
	s_waitcnt lgkmcnt(0)
	v_add_f32_e32 v0, v0, v3
	ds_bpermute_b32 v3, v6, v0
	v_cvt_f32_f16_e32 v6, v10
	v_add_f32_e32 v1, v1, v5
	s_waitcnt lgkmcnt(0)
	v_add_f32_e32 v0, v0, v3
	ds_bpermute_b32 v3, v7, v0
	v_add_f32_e32 v6, v1, v6
	s_waitcnt lgkmcnt(0)
	v_add_f32_e32 v0, v0, v3
	ds_bpermute_b32 v3, v8, v0
	v_mov_b32_e32 v8, s29
	s_waitcnt lgkmcnt(0)
	v_add_f32_e32 v3, v0, v3
	v_div_scale_f32 v0, s[0:1], v3, v3, v6
	v_div_scale_f32 v1, vcc, v6, v3, v6
	s_mul_i32 s0, s33, s34
	s_add_i32 s0, s0, s6
	s_mul_i32 s0, s0, s35
	s_add_i32 s0, s0, s40
	;; [unrolled: 2-line block ×3, first 2 shown]
	s_cmp_eq_u32 s3, 1
	v_rcp_f32_e32 v4, v0
	v_fma_f32 v5, -v0, v4, 1.0
	v_fmac_f32_e32 v4, v5, v4
	v_mul_f32_e32 v5, v1, v4
	v_fma_f32 v7, -v0, v5, v1
	v_fmac_f32_e32 v5, v7, v4
	v_fma_f32 v0, -v0, v5, v1
	v_div_fmas_f32 v7, v0, v4, v5
	v_mov_b32_e32 v1, 0
	v_lshl_or_b32 v0, s2, 7, v34
	v_lshlrev_b64 v[4:5], 2, v[0:1]
	v_cmp_eq_u32_e32 vcc, 0, v34
	v_add_co_u32_e64 v4, s[0:1], s28, v4
	v_addc_co_u32_e64 v5, s[0:1], v8, v5, s[0:1]
	s_cselect_b64 s[0:1], -1, 0
	s_cmp_lg_u32 s3, 1
	v_div_fixup_f32 v0, v7, v3, v6
	v_cndmask_b32_e64 v0, v6, v0, s[0:1]
	s_cselect_b64 s[0:1], -1, 0
	s_and_b64 s[0:1], vcc, s[0:1]
	global_store_dword v[4:5], v0, off
	s_and_saveexec_b64 s[4:5], s[0:1]
	s_cbranch_execz .LBB14_32
; %bb.31:
	s_mov_b32 s3, 0
	s_lshl_b64 s[0:1], s[2:3], 3
	s_add_u32 s0, s30, s0
	s_addc_u32 s1, s31, s1
	global_store_dwordx2 v1, v[2:3], s[0:1]
.LBB14_32:
	s_endpgm
	.section	.rodata,"a",@progbits
	.p2align	6, 0x0
	.amdhsa_kernel _ZL18flash_attn_ext_vecILi128ELi1EL9ggml_type2ELS0_8ELb0EEvPKcS2_S2_S2_S2_PKiPfP15HIP_vector_typeIfLj2EEffffjfiS6_IjLj3EEiiiiiiiiiiiliiliiiiil
		.amdhsa_group_segment_fixed_size 1280
		.amdhsa_private_segment_fixed_size 0
		.amdhsa_kernarg_size 464
		.amdhsa_user_sgpr_count 6
		.amdhsa_user_sgpr_private_segment_buffer 1
		.amdhsa_user_sgpr_dispatch_ptr 0
		.amdhsa_user_sgpr_queue_ptr 0
		.amdhsa_user_sgpr_kernarg_segment_ptr 1
		.amdhsa_user_sgpr_dispatch_id 0
		.amdhsa_user_sgpr_flat_scratch_init 0
		.amdhsa_user_sgpr_private_segment_size 0
		.amdhsa_uses_dynamic_stack 0
		.amdhsa_system_sgpr_private_segment_wavefront_offset 0
		.amdhsa_system_sgpr_workgroup_id_x 1
		.amdhsa_system_sgpr_workgroup_id_y 1
		.amdhsa_system_sgpr_workgroup_id_z 1
		.amdhsa_system_sgpr_workgroup_info 0
		.amdhsa_system_vgpr_workitem_id 1
		.amdhsa_next_free_vgpr 210
		.amdhsa_next_free_sgpr 58
		.amdhsa_reserve_vcc 1
		.amdhsa_reserve_flat_scratch 0
		.amdhsa_float_round_mode_32 0
		.amdhsa_float_round_mode_16_64 0
		.amdhsa_float_denorm_mode_32 3
		.amdhsa_float_denorm_mode_16_64 3
		.amdhsa_dx10_clamp 1
		.amdhsa_ieee_mode 1
		.amdhsa_fp16_overflow 0
		.amdhsa_exception_fp_ieee_invalid_op 0
		.amdhsa_exception_fp_denorm_src 0
		.amdhsa_exception_fp_ieee_div_zero 0
		.amdhsa_exception_fp_ieee_overflow 0
		.amdhsa_exception_fp_ieee_underflow 0
		.amdhsa_exception_fp_ieee_inexact 0
		.amdhsa_exception_int_div_zero 0
	.end_amdhsa_kernel
	.section	.text._ZL18flash_attn_ext_vecILi128ELi1EL9ggml_type2ELS0_8ELb0EEvPKcS2_S2_S2_S2_PKiPfP15HIP_vector_typeIfLj2EEffffjfiS6_IjLj3EEiiiiiiiiiiiliiliiiiil,"axG",@progbits,_ZL18flash_attn_ext_vecILi128ELi1EL9ggml_type2ELS0_8ELb0EEvPKcS2_S2_S2_S2_PKiPfP15HIP_vector_typeIfLj2EEffffjfiS6_IjLj3EEiiiiiiiiiiiliiliiiiil,comdat
.Lfunc_end14:
	.size	_ZL18flash_attn_ext_vecILi128ELi1EL9ggml_type2ELS0_8ELb0EEvPKcS2_S2_S2_S2_PKiPfP15HIP_vector_typeIfLj2EEffffjfiS6_IjLj3EEiiiiiiiiiiiliiliiiiil, .Lfunc_end14-_ZL18flash_attn_ext_vecILi128ELi1EL9ggml_type2ELS0_8ELb0EEvPKcS2_S2_S2_S2_PKiPfP15HIP_vector_typeIfLj2EEffffjfiS6_IjLj3EEiiiiiiiiiiiliiliiiiil
                                        ; -- End function
	.set _ZL18flash_attn_ext_vecILi128ELi1EL9ggml_type2ELS0_8ELb0EEvPKcS2_S2_S2_S2_PKiPfP15HIP_vector_typeIfLj2EEffffjfiS6_IjLj3EEiiiiiiiiiiiliiliiiiil.num_vgpr, 210
	.set _ZL18flash_attn_ext_vecILi128ELi1EL9ggml_type2ELS0_8ELb0EEvPKcS2_S2_S2_S2_PKiPfP15HIP_vector_typeIfLj2EEffffjfiS6_IjLj3EEiiiiiiiiiiiliiliiiiil.num_agpr, 0
	.set _ZL18flash_attn_ext_vecILi128ELi1EL9ggml_type2ELS0_8ELb0EEvPKcS2_S2_S2_S2_PKiPfP15HIP_vector_typeIfLj2EEffffjfiS6_IjLj3EEiiiiiiiiiiiliiliiiiil.numbered_sgpr, 58
	.set _ZL18flash_attn_ext_vecILi128ELi1EL9ggml_type2ELS0_8ELb0EEvPKcS2_S2_S2_S2_PKiPfP15HIP_vector_typeIfLj2EEffffjfiS6_IjLj3EEiiiiiiiiiiiliiliiiiil.num_named_barrier, 0
	.set _ZL18flash_attn_ext_vecILi128ELi1EL9ggml_type2ELS0_8ELb0EEvPKcS2_S2_S2_S2_PKiPfP15HIP_vector_typeIfLj2EEffffjfiS6_IjLj3EEiiiiiiiiiiiliiliiiiil.private_seg_size, 0
	.set _ZL18flash_attn_ext_vecILi128ELi1EL9ggml_type2ELS0_8ELb0EEvPKcS2_S2_S2_S2_PKiPfP15HIP_vector_typeIfLj2EEffffjfiS6_IjLj3EEiiiiiiiiiiiliiliiiiil.uses_vcc, 1
	.set _ZL18flash_attn_ext_vecILi128ELi1EL9ggml_type2ELS0_8ELb0EEvPKcS2_S2_S2_S2_PKiPfP15HIP_vector_typeIfLj2EEffffjfiS6_IjLj3EEiiiiiiiiiiiliiliiiiil.uses_flat_scratch, 0
	.set _ZL18flash_attn_ext_vecILi128ELi1EL9ggml_type2ELS0_8ELb0EEvPKcS2_S2_S2_S2_PKiPfP15HIP_vector_typeIfLj2EEffffjfiS6_IjLj3EEiiiiiiiiiiiliiliiiiil.has_dyn_sized_stack, 0
	.set _ZL18flash_attn_ext_vecILi128ELi1EL9ggml_type2ELS0_8ELb0EEvPKcS2_S2_S2_S2_PKiPfP15HIP_vector_typeIfLj2EEffffjfiS6_IjLj3EEiiiiiiiiiiiliiliiiiil.has_recursion, 0
	.set _ZL18flash_attn_ext_vecILi128ELi1EL9ggml_type2ELS0_8ELb0EEvPKcS2_S2_S2_S2_PKiPfP15HIP_vector_typeIfLj2EEffffjfiS6_IjLj3EEiiiiiiiiiiiliiliiiiil.has_indirect_call, 0
	.section	.AMDGPU.csdata,"",@progbits
; Kernel info:
; codeLenInByte = 14136
; TotalNumSgprs: 62
; NumVgprs: 210
; ScratchSize: 0
; MemoryBound: 0
; FloatMode: 240
; IeeeMode: 1
; LDSByteSize: 1280 bytes/workgroup (compile time only)
; SGPRBlocks: 7
; VGPRBlocks: 52
; NumSGPRsForWavesPerEU: 62
; NumVGPRsForWavesPerEU: 210
; Occupancy: 1
; WaveLimiterHint : 0
; COMPUTE_PGM_RSRC2:SCRATCH_EN: 0
; COMPUTE_PGM_RSRC2:USER_SGPR: 6
; COMPUTE_PGM_RSRC2:TRAP_HANDLER: 0
; COMPUTE_PGM_RSRC2:TGID_X_EN: 1
; COMPUTE_PGM_RSRC2:TGID_Y_EN: 1
; COMPUTE_PGM_RSRC2:TGID_Z_EN: 1
; COMPUTE_PGM_RSRC2:TIDIG_COMP_CNT: 1
	.section	.text._ZL33flash_attn_stream_k_fixup_uniformILi128ELi1ELi1EEvPfPK15HIP_vector_typeIfLj2EEiiiiiiS1_IjLj3EES5_S5_,"axG",@progbits,_ZL33flash_attn_stream_k_fixup_uniformILi128ELi1ELi1EEvPfPK15HIP_vector_typeIfLj2EEiiiiiiS1_IjLj3EES5_S5_,comdat
	.globl	_ZL33flash_attn_stream_k_fixup_uniformILi128ELi1ELi1EEvPfPK15HIP_vector_typeIfLj2EEiiiiiiS1_IjLj3EES5_S5_ ; -- Begin function _ZL33flash_attn_stream_k_fixup_uniformILi128ELi1ELi1EEvPfPK15HIP_vector_typeIfLj2EEiiiiiiS1_IjLj3EES5_S5_
	.p2align	8
	.type	_ZL33flash_attn_stream_k_fixup_uniformILi128ELi1ELi1EEvPfPK15HIP_vector_typeIfLj2EEiiiiiiS1_IjLj3EES5_S5_,@function
_ZL33flash_attn_stream_k_fixup_uniformILi128ELi1ELi1EEvPfPK15HIP_vector_typeIfLj2EEiiiiiiS1_IjLj3EES5_S5_: ; @_ZL33flash_attn_stream_k_fixup_uniformILi128ELi1ELi1EEvPfPK15HIP_vector_typeIfLj2EEiiiiiiS1_IjLj3EES5_S5_
; %bb.0:
	s_load_dwordx8 s[12:19], s[4:5], 0x1c
	s_load_dwordx2 s[10:11], s[4:5], 0x10
	s_load_dwordx4 s[0:3], s[4:5], 0x3c
	s_waitcnt lgkmcnt(0)
	s_mul_hi_u32 s9, s15, s6
	s_add_i32 s9, s6, s9
	s_lshr_b32 s9, s9, s16
	s_mul_i32 s15, s9, s17
	s_sub_i32 s16, s6, s15
	s_mul_hi_u32 s15, s16, s18
	s_add_i32 s15, s16, s15
	s_lshr_b32 s15, s15, s19
	s_mul_i32 s0, s15, s0
	s_sub_i32 s0, s16, s0
	;; [unrolled: 5-line block ×3, first 2 shown]
	s_add_i32 s16, s16, s7
	s_cmp_lt_i32 s16, s10
	s_cselect_b64 s[0:1], -1, 0
	s_add_i32 s17, s17, s8
	s_cmp_lt_i32 s17, s13
	s_cselect_b64 s[2:3], -1, 0
	s_and_b64 s[0:1], s[0:1], s[2:3]
	s_andn2_b64 vcc, exec, s[0:1]
	s_cbranch_vccnz .LBB15_6
; %bb.1:
	s_mul_i32 s9, s9, s10
	s_load_dwordx4 s[0:3], s[4:5], 0x0
	s_mul_i32 s15, s15, s13
	s_add_i32 s4, s16, s9
	s_mul_i32 s4, s4, s11
	s_add_i32 s5, s17, s15
	s_add_i32 s5, s5, s4
	v_lshl_or_b32 v1, s5, 7, v0
	v_ashrrev_i32_e32 v2, 31, v1
	v_lshlrev_b64 v[1:2], 2, v[1:2]
	s_waitcnt lgkmcnt(0)
	v_mov_b32_e32 v3, s1
	v_add_co_u32_e32 v1, vcc, s0, v1
	v_addc_co_u32_e32 v2, vcc, v3, v2, vcc
	global_load_dword v8, v[1:2], off
	s_mul_i32 s4, s14, s6
	s_add_i32 s7, s7, s8
	s_add_i32 s6, s4, s14
	;; [unrolled: 1-line block ×3, first 2 shown]
	s_add_i32 s0, s8, -1
	s_ashr_i32 s1, s0, 31
	s_lshl_b64 s[0:1], s[0:1], 3
	s_add_u32 s0, s2, s0
	s_addc_u32 s1, s3, s1
	s_load_dword s9, s[0:1], 0x4
	s_add_i32 s5, s6, -2
	s_cmp_lt_i32 s5, s4
	s_cbranch_scc1 .LBB15_4
; %bb.2:
	s_lshl_b32 s10, s12, 2
	s_load_dword s0, s[0:1], 0x0
	s_ashr_i32 s11, s10, 31
	s_lshl_b64 s[10:11], s[10:11], 2
	s_add_u32 s5, s2, s10
	s_addc_u32 s10, s3, s11
	v_lshl_or_b32 v0, s8, 7, v0
	s_add_i32 s6, s6, -1
	s_add_i32 s7, s7, s12
	v_add_u32_e32 v3, 0xffffff00, v0
	s_waitcnt lgkmcnt(0)
	v_mov_b32_e32 v7, s9
	v_mov_b32_e32 v6, s0
	;; [unrolled: 1-line block ×3, first 2 shown]
	s_mov_b32 s8, 0x3fb8aa3b
	s_mov_b32 s9, 0xc2ce8ed0
	;; [unrolled: 1-line block ×3, first 2 shown]
	v_mov_b32_e32 v5, 0x7f800000
	s_mov_b32 s11, 0xc1a00000
.LBB15_3:                               ; =>This Inner Loop Header: Depth=1
	v_ashrrev_i32_e32 v4, 31, v3
	v_lshlrev_b64 v[9:10], 2, v[3:4]
	s_add_i32 s6, s6, -1
	v_add_co_u32_e32 v9, vcc, s5, v9
	v_addc_co_u32_e32 v10, vcc, v0, v10, vcc
	global_load_dword v4, v[9:10], off
	s_add_i32 s0, s6, s7
	s_ashr_i32 s1, s0, 31
	s_lshl_b64 s[0:1], s[0:1], 3
	s_add_u32 s0, s2, s0
	s_addc_u32 s1, s3, s1
	s_load_dwordx2 s[12:13], s[0:1], 0x0
	s_waitcnt vmcnt(1)
	v_mov_b32_e32 v9, v8
	v_max_f32_e32 v8, v6, v6
	v_mov_b32_e32 v10, v7
	v_add_u32_e32 v3, 0xffffff80, v3
	s_waitcnt lgkmcnt(0)
	v_max_f32_e64 v7, s12, s12
	v_max_f32_e32 v7, v8, v7
	v_sub_f32_e32 v11, s12, v7
	v_sub_f32_e32 v8, v6, v7
	v_mul_f32_e32 v12, 0x3fb8aa3b, v11
	v_mov_b32_e32 v6, v7
	v_mul_f32_e32 v7, 0x3fb8aa3b, v8
	v_fma_f32 v15, v11, s8, -v12
	v_rndne_f32_e32 v16, v12
	v_fma_f32 v13, v8, s8, -v7
	v_rndne_f32_e32 v14, v7
	v_fmac_f32_e32 v15, 0x32a5705f, v11
	v_sub_f32_e32 v12, v12, v16
	v_fmac_f32_e32 v13, 0x32a5705f, v8
	v_sub_f32_e32 v7, v7, v14
	v_add_f32_e32 v12, v12, v15
	v_cvt_i32_f32_e32 v16, v16
	v_add_f32_e32 v7, v7, v13
	v_exp_f32_e32 v12, v12
	v_cvt_i32_f32_e32 v14, v14
	v_exp_f32_e32 v7, v7
	v_cmp_ngt_f32_e32 vcc, s9, v11
	v_ldexp_f32 v12, v12, v16
	v_cmp_ngt_f32_e64 s[0:1], s9, v8
	v_ldexp_f32 v7, v7, v14
	v_cndmask_b32_e32 v12, 0, v12, vcc
	v_cmp_nlt_f32_e32 vcc, s10, v11
	v_cndmask_b32_e64 v7, 0, v7, s[0:1]
	v_cmp_nlt_f32_e64 s[0:1], s10, v8
	v_cndmask_b32_e32 v12, v5, v12, vcc
	v_cmp_le_f32_e32 vcc, s11, v11
	v_cndmask_b32_e64 v7, v5, v7, s[0:1]
	v_cmp_le_f32_e64 s[0:1], s11, v8
	v_cndmask_b32_e32 v8, 0, v12, vcc
	v_cndmask_b32_e64 v11, 0, v7, s[0:1]
	v_mul_f32_e32 v7, s13, v8
	s_cmp_le_i32 s6, s4
	v_fmac_f32_e32 v7, v10, v11
	s_waitcnt vmcnt(0)
	v_mul_f32_e32 v8, v4, v8
	v_fmac_f32_e32 v8, v9, v11
	s_cbranch_scc0 .LBB15_3
	s_branch .LBB15_5
.LBB15_4:
	s_waitcnt lgkmcnt(0)
	v_mov_b32_e32 v7, s9
.LBB15_5:
	s_waitcnt vmcnt(0)
	v_div_scale_f32 v0, s[0:1], v7, v7, v8
	v_div_scale_f32 v3, vcc, v8, v7, v8
	v_rcp_f32_e32 v4, v0
	v_fma_f32 v5, -v0, v4, 1.0
	v_fmac_f32_e32 v4, v5, v4
	v_mul_f32_e32 v5, v3, v4
	v_fma_f32 v6, -v0, v5, v3
	v_fmac_f32_e32 v5, v6, v4
	v_fma_f32 v0, -v0, v5, v3
	v_div_fmas_f32 v0, v0, v4, v5
	v_div_fixup_f32 v0, v0, v7, v8
	global_store_dword v[1:2], v0, off
.LBB15_6:
	s_endpgm
	.section	.rodata,"a",@progbits
	.p2align	6, 0x0
	.amdhsa_kernel _ZL33flash_attn_stream_k_fixup_uniformILi128ELi1ELi1EEvPfPK15HIP_vector_typeIfLj2EEiiiiiiS1_IjLj3EES5_S5_
		.amdhsa_group_segment_fixed_size 0
		.amdhsa_private_segment_fixed_size 0
		.amdhsa_kernarg_size 76
		.amdhsa_user_sgpr_count 6
		.amdhsa_user_sgpr_private_segment_buffer 1
		.amdhsa_user_sgpr_dispatch_ptr 0
		.amdhsa_user_sgpr_queue_ptr 0
		.amdhsa_user_sgpr_kernarg_segment_ptr 1
		.amdhsa_user_sgpr_dispatch_id 0
		.amdhsa_user_sgpr_flat_scratch_init 0
		.amdhsa_user_sgpr_private_segment_size 0
		.amdhsa_uses_dynamic_stack 0
		.amdhsa_system_sgpr_private_segment_wavefront_offset 0
		.amdhsa_system_sgpr_workgroup_id_x 1
		.amdhsa_system_sgpr_workgroup_id_y 1
		.amdhsa_system_sgpr_workgroup_id_z 1
		.amdhsa_system_sgpr_workgroup_info 0
		.amdhsa_system_vgpr_workitem_id 0
		.amdhsa_next_free_vgpr 17
		.amdhsa_next_free_sgpr 20
		.amdhsa_reserve_vcc 1
		.amdhsa_reserve_flat_scratch 0
		.amdhsa_float_round_mode_32 0
		.amdhsa_float_round_mode_16_64 0
		.amdhsa_float_denorm_mode_32 3
		.amdhsa_float_denorm_mode_16_64 3
		.amdhsa_dx10_clamp 1
		.amdhsa_ieee_mode 1
		.amdhsa_fp16_overflow 0
		.amdhsa_exception_fp_ieee_invalid_op 0
		.amdhsa_exception_fp_denorm_src 0
		.amdhsa_exception_fp_ieee_div_zero 0
		.amdhsa_exception_fp_ieee_overflow 0
		.amdhsa_exception_fp_ieee_underflow 0
		.amdhsa_exception_fp_ieee_inexact 0
		.amdhsa_exception_int_div_zero 0
	.end_amdhsa_kernel
	.section	.text._ZL33flash_attn_stream_k_fixup_uniformILi128ELi1ELi1EEvPfPK15HIP_vector_typeIfLj2EEiiiiiiS1_IjLj3EES5_S5_,"axG",@progbits,_ZL33flash_attn_stream_k_fixup_uniformILi128ELi1ELi1EEvPfPK15HIP_vector_typeIfLj2EEiiiiiiS1_IjLj3EES5_S5_,comdat
.Lfunc_end15:
	.size	_ZL33flash_attn_stream_k_fixup_uniformILi128ELi1ELi1EEvPfPK15HIP_vector_typeIfLj2EEiiiiiiS1_IjLj3EES5_S5_, .Lfunc_end15-_ZL33flash_attn_stream_k_fixup_uniformILi128ELi1ELi1EEvPfPK15HIP_vector_typeIfLj2EEiiiiiiS1_IjLj3EES5_S5_
                                        ; -- End function
	.set _ZL33flash_attn_stream_k_fixup_uniformILi128ELi1ELi1EEvPfPK15HIP_vector_typeIfLj2EEiiiiiiS1_IjLj3EES5_S5_.num_vgpr, 17
	.set _ZL33flash_attn_stream_k_fixup_uniformILi128ELi1ELi1EEvPfPK15HIP_vector_typeIfLj2EEiiiiiiS1_IjLj3EES5_S5_.num_agpr, 0
	.set _ZL33flash_attn_stream_k_fixup_uniformILi128ELi1ELi1EEvPfPK15HIP_vector_typeIfLj2EEiiiiiiS1_IjLj3EES5_S5_.numbered_sgpr, 20
	.set _ZL33flash_attn_stream_k_fixup_uniformILi128ELi1ELi1EEvPfPK15HIP_vector_typeIfLj2EEiiiiiiS1_IjLj3EES5_S5_.num_named_barrier, 0
	.set _ZL33flash_attn_stream_k_fixup_uniformILi128ELi1ELi1EEvPfPK15HIP_vector_typeIfLj2EEiiiiiiS1_IjLj3EES5_S5_.private_seg_size, 0
	.set _ZL33flash_attn_stream_k_fixup_uniformILi128ELi1ELi1EEvPfPK15HIP_vector_typeIfLj2EEiiiiiiS1_IjLj3EES5_S5_.uses_vcc, 1
	.set _ZL33flash_attn_stream_k_fixup_uniformILi128ELi1ELi1EEvPfPK15HIP_vector_typeIfLj2EEiiiiiiS1_IjLj3EES5_S5_.uses_flat_scratch, 0
	.set _ZL33flash_attn_stream_k_fixup_uniformILi128ELi1ELi1EEvPfPK15HIP_vector_typeIfLj2EEiiiiiiS1_IjLj3EES5_S5_.has_dyn_sized_stack, 0
	.set _ZL33flash_attn_stream_k_fixup_uniformILi128ELi1ELi1EEvPfPK15HIP_vector_typeIfLj2EEiiiiiiS1_IjLj3EES5_S5_.has_recursion, 0
	.set _ZL33flash_attn_stream_k_fixup_uniformILi128ELi1ELi1EEvPfPK15HIP_vector_typeIfLj2EEiiiiiiS1_IjLj3EES5_S5_.has_indirect_call, 0
	.section	.AMDGPU.csdata,"",@progbits
; Kernel info:
; codeLenInByte = 780
; TotalNumSgprs: 24
; NumVgprs: 17
; ScratchSize: 0
; MemoryBound: 0
; FloatMode: 240
; IeeeMode: 1
; LDSByteSize: 0 bytes/workgroup (compile time only)
; SGPRBlocks: 2
; VGPRBlocks: 4
; NumSGPRsForWavesPerEU: 24
; NumVGPRsForWavesPerEU: 17
; Occupancy: 10
; WaveLimiterHint : 0
; COMPUTE_PGM_RSRC2:SCRATCH_EN: 0
; COMPUTE_PGM_RSRC2:USER_SGPR: 6
; COMPUTE_PGM_RSRC2:TRAP_HANDLER: 0
; COMPUTE_PGM_RSRC2:TGID_X_EN: 1
; COMPUTE_PGM_RSRC2:TGID_Y_EN: 1
; COMPUTE_PGM_RSRC2:TGID_Z_EN: 1
; COMPUTE_PGM_RSRC2:TIDIG_COMP_CNT: 0
	.section	.text._ZL33flash_attn_stream_k_fixup_generalILi128ELi1ELi1EEvPfPK15HIP_vector_typeIfLj2EEiiiiS1_IjLj3EES5_S5_S5_,"axG",@progbits,_ZL33flash_attn_stream_k_fixup_generalILi128ELi1ELi1EEvPfPK15HIP_vector_typeIfLj2EEiiiiS1_IjLj3EES5_S5_S5_,comdat
	.globl	_ZL33flash_attn_stream_k_fixup_generalILi128ELi1ELi1EEvPfPK15HIP_vector_typeIfLj2EEiiiiS1_IjLj3EES5_S5_S5_ ; -- Begin function _ZL33flash_attn_stream_k_fixup_generalILi128ELi1ELi1EEvPfPK15HIP_vector_typeIfLj2EEiiiiS1_IjLj3EES5_S5_S5_
	.p2align	8
	.type	_ZL33flash_attn_stream_k_fixup_generalILi128ELi1ELi1EEvPfPK15HIP_vector_typeIfLj2EEiiiiS1_IjLj3EES5_S5_S5_,@function
_ZL33flash_attn_stream_k_fixup_generalILi128ELi1ELi1EEvPfPK15HIP_vector_typeIfLj2EEiiiiS1_IjLj3EES5_S5_S5_: ; @_ZL33flash_attn_stream_k_fixup_generalILi128ELi1ELi1EEvPfPK15HIP_vector_typeIfLj2EEiiiiS1_IjLj3EES5_S5_S5_
; %bb.0:
	s_load_dwordx4 s[0:3], s[4:5], 0x10
	s_load_dword s22, s[4:5], 0x50
	s_mov_b32 s12, 0
	s_waitcnt lgkmcnt(0)
	s_mul_hi_i32 s13, s3, s6
	s_cmp_lg_u64 s[12:13], 0
	s_mul_i32 s9, s3, s6
	s_cbranch_scc0 .LBB16_20
; %bb.1:
	s_add_u32 s10, s22, 0
	s_addc_u32 s11, 0, 0
	s_xor_b64 s[10:11], s[10:11], 0
	v_cvt_f32_u32_e32 v1, s10
	v_cvt_f32_u32_e32 v2, s11
	s_sub_u32 s12, 0, s10
	s_subb_u32 s18, 0, s11
	v_madmk_f32 v1, v2, 0x4f800000, v1
	v_rcp_f32_e32 v1, v1
	v_mul_f32_e32 v1, 0x5f7ffffc, v1
	v_mul_f32_e32 v2, 0x2f800000, v1
	v_trunc_f32_e32 v2, v2
	v_madmk_f32 v1, v2, 0xcf800000, v1
	v_cvt_u32_f32_e32 v2, v2
	v_cvt_u32_f32_e32 v1, v1
	v_readfirstlane_b32 s19, v2
	v_readfirstlane_b32 s14, v1
	s_mul_i32 s15, s12, s19
	s_mul_hi_u32 s21, s12, s14
	s_mul_i32 s20, s18, s14
	s_add_i32 s15, s21, s15
	s_add_i32 s15, s15, s20
	s_mul_i32 s23, s12, s14
	s_mul_i32 s21, s14, s15
	s_mul_hi_u32 s24, s14, s23
	s_mul_hi_u32 s20, s14, s15
	s_add_u32 s21, s24, s21
	s_addc_u32 s20, 0, s20
	s_mul_hi_u32 s25, s19, s23
	s_mul_i32 s23, s19, s23
	s_add_u32 s21, s21, s23
	s_mul_hi_u32 s24, s19, s15
	s_addc_u32 s20, s20, s25
	s_addc_u32 s21, s24, 0
	s_mul_i32 s15, s19, s15
	s_add_u32 s15, s20, s15
	s_addc_u32 s20, 0, s21
	s_add_u32 s21, s14, s15
	s_cselect_b64 s[14:15], -1, 0
	s_cmp_lg_u64 s[14:15], 0
	s_addc_u32 s19, s19, s20
	s_mul_i32 s14, s12, s19
	s_mul_hi_u32 s15, s12, s21
	s_add_i32 s14, s15, s14
	s_mul_i32 s18, s18, s21
	s_add_i32 s14, s14, s18
	s_mul_i32 s12, s12, s21
	s_mul_hi_u32 s18, s19, s12
	s_mul_i32 s20, s19, s12
	s_mul_i32 s24, s21, s14
	s_mul_hi_u32 s12, s21, s12
	s_mul_hi_u32 s23, s21, s14
	s_add_u32 s12, s12, s24
	s_addc_u32 s23, 0, s23
	s_add_u32 s12, s12, s20
	s_mul_hi_u32 s15, s19, s14
	s_addc_u32 s12, s23, s18
	s_addc_u32 s15, s15, 0
	s_mul_i32 s14, s19, s14
	s_add_u32 s12, s12, s14
	s_addc_u32 s18, 0, s15
	s_add_u32 s20, s21, s12
	s_cselect_b64 s[14:15], -1, 0
	s_cmp_lg_u64 s[14:15], 0
	s_addc_u32 s18, s19, s18
	s_ashr_i32 s14, s13, 31
	s_add_u32 s12, s9, s14
	s_mov_b32 s15, s14
	s_addc_u32 s13, s13, s14
	s_xor_b64 s[12:13], s[12:13], s[14:15]
	s_mul_i32 s21, s12, s18
	s_mul_hi_u32 s23, s12, s20
	s_mul_hi_u32 s19, s12, s18
	s_add_u32 s21, s23, s21
	s_addc_u32 s19, 0, s19
	s_mul_hi_u32 s24, s13, s20
	s_mul_i32 s20, s13, s20
	s_add_u32 s20, s21, s20
	s_mul_hi_u32 s23, s13, s18
	s_addc_u32 s19, s19, s24
	s_addc_u32 s20, s23, 0
	s_mul_i32 s18, s13, s18
	s_add_u32 s23, s19, s18
	s_addc_u32 s24, 0, s20
	s_mul_i32 s18, s10, s24
	s_mul_hi_u32 s19, s10, s23
	s_add_i32 s18, s19, s18
	s_mul_i32 s19, s11, s23
	s_add_i32 s25, s18, s19
	s_sub_i32 s20, s13, s25
	s_mul_i32 s18, s10, s23
	s_sub_u32 s12, s12, s18
	s_cselect_b64 s[18:19], -1, 0
	s_cmp_lg_u64 s[18:19], 0
	s_subb_u32 s26, s20, s11
	s_sub_u32 s27, s12, s10
	s_cselect_b64 s[20:21], -1, 0
	s_cmp_lg_u64 s[20:21], 0
	s_subb_u32 s20, s26, 0
	s_cmp_ge_u32 s20, s11
	s_cselect_b32 s21, -1, 0
	s_cmp_ge_u32 s27, s10
	s_cselect_b32 s26, -1, 0
	s_cmp_eq_u32 s20, s11
	s_cselect_b32 s20, s26, s21
	s_add_u32 s21, s23, 1
	s_addc_u32 s26, s24, 0
	s_add_u32 s27, s23, 2
	s_addc_u32 s28, s24, 0
	s_cmp_lg_u32 s20, 0
	s_cselect_b32 s20, s27, s21
	s_cselect_b32 s21, s28, s26
	s_cmp_lg_u64 s[18:19], 0
	s_subb_u32 s13, s13, s25
	s_cmp_ge_u32 s13, s11
	s_cselect_b32 s18, -1, 0
	s_cmp_ge_u32 s12, s10
	s_cselect_b32 s10, -1, 0
	s_cmp_eq_u32 s13, s11
	s_cselect_b32 s10, s10, s18
	s_cmp_lg_u32 s10, 0
	s_cselect_b32 s11, s21, s24
	s_cselect_b32 s10, s20, s23
	s_xor_b64 s[12:13], s[14:15], 0
	s_xor_b64 s[10:11], s[10:11], s[12:13]
	s_sub_u32 s10, s10, s12
	s_load_dwordx4 s[12:15], s[4:5], 0x44
	s_cbranch_execnz .LBB16_3
.LBB16_2:
	v_cvt_f32_u32_e32 v1, s22
	s_sub_i32 s10, 0, s22
	v_rcp_iflag_f32_e32 v1, v1
	v_mul_f32_e32 v1, 0x4f7ffffe, v1
	v_cvt_u32_f32_e32 v1, v1
	v_readfirstlane_b32 s11, v1
	s_mul_i32 s10, s10, s11
	s_mul_hi_u32 s10, s11, s10
	s_add_i32 s11, s11, s10
	s_mul_hi_u32 s10, s9, s11
	s_waitcnt lgkmcnt(0)
	s_mul_i32 s15, s10, s22
	s_sub_i32 s9, s9, s15
	s_add_i32 s11, s10, 1
	s_sub_i32 s15, s9, s22
	s_cmp_ge_u32 s9, s22
	s_cselect_b32 s10, s11, s10
	s_cselect_b32 s9, s15, s9
	s_add_i32 s11, s10, 1
	s_cmp_ge_u32 s9, s22
	s_cselect_b32 s10, s11, s10
.LBB16_3:
	s_add_i32 s9, s6, 1
	s_mul_hi_i32 s21, s3, s9
	s_mov_b32 s20, 0
	s_cmp_lg_u64 s[20:21], 0
	s_mul_i32 s9, s3, s9
	s_cbranch_scc0 .LBB16_21
; %bb.4:
	s_add_u32 s16, s22, 0
	s_addc_u32 s17, 0, 0
	s_xor_b64 s[18:19], s[16:17], 0
	v_cvt_f32_u32_e32 v1, s18
	v_cvt_f32_u32_e32 v2, s19
	s_sub_u32 s11, 0, s18
	s_waitcnt lgkmcnt(0)
	s_subb_u32 s15, 0, s19
	v_madmk_f32 v1, v2, 0x4f800000, v1
	v_rcp_f32_e32 v1, v1
	v_mul_f32_e32 v1, 0x5f7ffffc, v1
	v_mul_f32_e32 v2, 0x2f800000, v1
	v_trunc_f32_e32 v2, v2
	v_madmk_f32 v1, v2, 0xcf800000, v1
	v_cvt_u32_f32_e32 v2, v2
	v_cvt_u32_f32_e32 v1, v1
	v_readfirstlane_b32 s20, v2
	v_readfirstlane_b32 s23, v1
	s_mul_i32 s24, s11, s20
	s_mul_hi_u32 s26, s11, s23
	s_mul_i32 s25, s15, s23
	s_add_i32 s24, s26, s24
	s_add_i32 s24, s24, s25
	s_mul_i32 s27, s11, s23
	s_mul_i32 s26, s23, s24
	s_mul_hi_u32 s28, s23, s27
	s_mul_hi_u32 s25, s23, s24
	s_add_u32 s26, s28, s26
	s_addc_u32 s25, 0, s25
	s_mul_hi_u32 s29, s20, s27
	s_mul_i32 s27, s20, s27
	s_add_u32 s26, s26, s27
	s_mul_hi_u32 s28, s20, s24
	s_addc_u32 s25, s25, s29
	s_addc_u32 s26, s28, 0
	s_mul_i32 s24, s20, s24
	s_add_u32 s24, s25, s24
	s_addc_u32 s26, 0, s26
	s_add_u32 s23, s23, s24
	s_cselect_b64 s[24:25], -1, 0
	s_cmp_lg_u64 s[24:25], 0
	s_addc_u32 s20, s20, s26
	s_mul_i32 s24, s11, s20
	s_mul_hi_u32 s25, s11, s23
	s_add_i32 s24, s25, s24
	s_mul_i32 s15, s15, s23
	s_add_i32 s24, s24, s15
	s_mul_i32 s11, s11, s23
	s_mul_hi_u32 s25, s20, s11
	s_mul_i32 s26, s20, s11
	s_mul_i32 s28, s23, s24
	s_mul_hi_u32 s11, s23, s11
	s_mul_hi_u32 s27, s23, s24
	s_add_u32 s11, s11, s28
	s_addc_u32 s27, 0, s27
	s_add_u32 s11, s11, s26
	s_mul_hi_u32 s15, s20, s24
	s_addc_u32 s11, s27, s25
	s_addc_u32 s15, s15, 0
	s_mul_i32 s24, s20, s24
	s_add_u32 s11, s11, s24
	s_addc_u32 s15, 0, s15
	s_add_u32 s11, s23, s11
	s_cselect_b64 s[24:25], -1, 0
	s_cmp_lg_u64 s[24:25], 0
	s_addc_u32 s15, s20, s15
	s_ashr_i32 s24, s21, 31
	s_add_u32 s20, s9, s24
	s_mov_b32 s25, s24
	s_addc_u32 s21, s21, s24
	s_xor_b64 s[20:21], s[20:21], s[24:25]
	s_mul_i32 s26, s20, s15
	s_mul_hi_u32 s27, s20, s11
	s_mul_hi_u32 s23, s20, s15
	s_add_u32 s26, s27, s26
	s_addc_u32 s23, 0, s23
	s_mul_hi_u32 s28, s21, s11
	s_mul_i32 s11, s21, s11
	s_add_u32 s11, s26, s11
	s_mul_hi_u32 s27, s21, s15
	s_addc_u32 s11, s23, s28
	s_addc_u32 s23, s27, 0
	s_mul_i32 s15, s21, s15
	s_add_u32 s11, s11, s15
	s_addc_u32 s15, 0, s23
	s_mul_i32 s23, s18, s15
	s_mul_hi_u32 s26, s18, s11
	s_add_i32 s23, s26, s23
	s_mul_i32 s26, s19, s11
	s_add_i32 s23, s23, s26
	s_sub_i32 s28, s21, s23
	s_mul_i32 s26, s18, s11
	s_sub_u32 s20, s20, s26
	s_cselect_b64 s[26:27], -1, 0
	s_cmp_lg_u64 s[26:27], 0
	s_subb_u32 s30, s28, s19
	s_sub_u32 s31, s20, s18
	s_cselect_b64 s[28:29], -1, 0
	s_cmp_lg_u64 s[28:29], 0
	s_subb_u32 s28, s30, 0
	s_cmp_ge_u32 s28, s19
	s_cselect_b32 s29, -1, 0
	s_cmp_ge_u32 s31, s18
	s_cselect_b32 s30, -1, 0
	s_cmp_eq_u32 s28, s19
	s_cselect_b32 s28, s30, s29
	s_add_u32 s29, s11, 1
	s_addc_u32 s30, s15, 0
	s_add_u32 s31, s11, 2
	s_addc_u32 s33, s15, 0
	s_cmp_lg_u32 s28, 0
	s_cselect_b32 s28, s31, s29
	s_cselect_b32 s29, s33, s30
	s_cmp_lg_u64 s[26:27], 0
	s_subb_u32 s21, s21, s23
	s_cmp_ge_u32 s21, s19
	s_cselect_b32 s23, -1, 0
	s_cmp_ge_u32 s20, s18
	s_cselect_b32 s18, -1, 0
	s_cmp_eq_u32 s21, s19
	s_cselect_b32 s18, s18, s23
	s_cmp_lg_u32 s18, 0
	s_cselect_b32 s19, s29, s15
	s_cselect_b32 s18, s28, s11
	s_xor_b64 s[20:21], s[24:25], 0
	s_xor_b64 s[18:19], s[18:19], s[20:21]
	s_sub_u32 s18, s18, s20
	s_cbranch_execnz .LBB16_6
.LBB16_5:
	v_cvt_f32_u32_e32 v1, s22
	s_sub_i32 s11, 0, s22
	v_rcp_iflag_f32_e32 v1, v1
	v_mul_f32_e32 v1, 0x4f7ffffe, v1
	v_cvt_u32_f32_e32 v1, v1
	s_waitcnt lgkmcnt(0)
	v_readfirstlane_b32 s15, v1
	s_mul_i32 s11, s11, s15
	s_mul_hi_u32 s11, s15, s11
	s_add_i32 s15, s15, s11
	s_mul_hi_u32 s11, s9, s15
	s_mul_i32 s16, s11, s22
	s_sub_i32 s9, s9, s16
	s_add_i32 s15, s11, 1
	s_sub_i32 s16, s9, s22
	s_cmp_ge_u32 s9, s22
	s_cselect_b32 s11, s15, s11
	s_cselect_b32 s9, s16, s9
	s_add_i32 s15, s11, 1
	s_cmp_ge_u32 s9, s22
	s_cselect_b32 s18, s15, s11
.LBB16_6:
	s_cmp_eq_u32 s10, s18
	s_waitcnt lgkmcnt(0)
	s_mul_hi_u32 s9, s10, s12
	s_cselect_b64 s[16:17], -1, 0
	s_add_i32 s9, s9, s10
	s_lshr_b32 s11, s9, s13
	s_mul_i32 s9, s11, s14
	s_cmp_eq_u32 s9, s10
	s_mul_hi_u32 s9, s18, s12
	s_cselect_b64 s[20:21], -1, 0
	s_add_i32 s9, s9, s18
	s_lshr_b32 s9, s9, s13
	s_cmp_eq_u32 s11, s9
	s_mul_i32 s9, s9, s14
	s_cselect_b64 s[24:25], -1, 0
	s_cmp_lg_u32 s9, s18
	s_cselect_b64 s[18:19], -1, 0
	s_and_b64 s[18:19], s[24:25], s[18:19]
	s_or_b64 s[16:17], s[16:17], s[20:21]
	s_or_b64 s[16:17], s[16:17], s[18:19]
	s_and_b64 vcc, exec, s[16:17]
	s_cbranch_vccnz .LBB16_23
; %bb.7:
	s_load_dwordx8 s[24:31], s[4:5], 0x20
	s_load_dword s15, s[4:5], 0x40
	s_waitcnt lgkmcnt(0)
	s_mul_hi_u32 s9, s10, s24
	s_add_i32 s9, s9, s10
	s_lshr_b32 s9, s9, s25
	s_mul_i32 s16, s9, s26
	s_sub_i32 s16, s10, s16
	s_mul_hi_u32 s17, s16, s27
	s_add_i32 s17, s16, s17
	s_lshr_b32 s23, s17, s28
	s_mul_i32 s17, s23, s29
	s_sub_i32 s16, s16, s17
	;; [unrolled: 5-line block ×3, first 2 shown]
	s_mul_hi_u32 s16, s15, s12
	s_add_i32 s15, s15, s16
	s_lshr_b32 s24, s15, s13
	s_add_i32 s24, s24, s7
	s_cmp_lt_i32 s24, s0
	s_cselect_b64 s[16:17], -1, 0
	s_add_i32 s25, s25, s8
	s_cmp_lt_i32 s25, s2
	s_cselect_b64 s[18:19], -1, 0
	s_and_b64 s[16:17], s[16:17], s[18:19]
	s_andn2_b64 vcc, exec, s[16:17]
	s_cbranch_vccnz .LBB16_23
; %bb.8:
	s_load_dwordx4 s[16:19], s[4:5], 0x0
	s_mov_b32 s4, 0
	s_lshl_b32 s20, s22, 2
	s_mov_b32 s21, s4
	s_add_i32 s15, s7, s8
	s_lshl_b64 s[20:21], s[20:21], 2
	s_waitcnt lgkmcnt(0)
	s_add_u32 s20, s18, s20
	s_mul_i32 s9, s9, s0
	s_addc_u32 s21, s19, s21
	s_mul_i32 s23, s23, s2
	s_add_i32 s0, s24, s9
	s_mul_i32 s0, s0, s1
	s_add_i32 s1, s25, s23
	s_add_i32 s1, s1, s0
	v_lshl_or_b32 v1, s1, 7, v0
	v_ashrrev_i32_e32 v2, 31, v1
	v_lshlrev_b64 v[1:2], 2, v[1:2]
	v_mov_b32_e32 v3, s17
	v_add_co_u32_e32 v1, vcc, s16, v1
	v_addc_co_u32_e32 v2, vcc, v3, v2, vcc
	global_load_dword v3, v[1:2], off
	v_cvt_f32_u32_e32 v4, s22
	s_add_i32 s0, s15, s6
	s_ashr_i32 s1, s0, 31
	s_lshl_b64 s[0:1], s[0:1], 3
	v_rcp_iflag_f32_e32 v4, v4
	s_add_u32 s0, s18, s0
	s_addc_u32 s1, s19, s1
	s_load_dwordx2 s[0:1], s[0:1], 0x0
	v_mul_f32_e32 v4, 0x4f7ffffe, v4
	v_cvt_u32_f32_e32 v4, v4
	s_add_i32 s24, s6, -1
	s_mov_b32 s2, 0x3fb8aa3b
	s_waitcnt lgkmcnt(0)
	v_mov_b32_e32 v6, s1
	v_mov_b32_e32 v7, s0
	s_mov_b32 s16, 0xc2ce8ed0
	s_mov_b32 s17, 0x42b17218
	;; [unrolled: 1-line block ×3, first 2 shown]
	v_mov_b32_e32 v5, 0x7f800000
	s_mul_hi_i32 s5, s24, s3
	s_cmp_lg_u64 s[4:5], 0
	s_mul_i32 s8, s24, s3
	s_cbranch_scc0 .LBB16_19
.LBB16_9:
	s_add_u32 s0, s22, 0
	s_addc_u32 s1, 0, 0
	s_xor_b64 s[0:1], s[0:1], 0
	v_cvt_f32_u32_e32 v8, s0
	v_cvt_f32_u32_e32 v9, s1
	s_sub_u32 s9, 0, s0
	s_subb_u32 s25, 0, s1
	v_mac_f32_e32 v8, 0x4f800000, v9
	v_rcp_f32_e32 v8, v8
	v_mul_f32_e32 v8, 0x5f7ffffc, v8
	v_mul_f32_e32 v9, 0x2f800000, v8
	v_trunc_f32_e32 v9, v9
	v_mac_f32_e32 v8, 0xcf800000, v9
	v_cvt_u32_f32_e32 v9, v9
	v_cvt_u32_f32_e32 v8, v8
	v_readfirstlane_b32 s26, v9
	v_readfirstlane_b32 s6, v8
	s_mul_i32 s7, s9, s26
	s_mul_hi_u32 s28, s9, s6
	s_mul_i32 s27, s25, s6
	s_add_i32 s7, s28, s7
	s_mul_i32 s29, s9, s6
	s_add_i32 s7, s7, s27
	s_mul_i32 s28, s6, s7
	s_mul_hi_u32 s30, s6, s29
	s_mul_hi_u32 s27, s6, s7
	s_add_u32 s28, s30, s28
	s_addc_u32 s27, 0, s27
	s_mul_hi_u32 s31, s26, s29
	s_mul_i32 s29, s26, s29
	s_add_u32 s28, s28, s29
	s_mul_hi_u32 s30, s26, s7
	s_addc_u32 s27, s27, s31
	s_addc_u32 s28, s30, 0
	s_mul_i32 s7, s26, s7
	s_add_u32 s7, s27, s7
	s_addc_u32 s27, 0, s28
	s_add_u32 s28, s6, s7
	s_cselect_b64 s[6:7], -1, 0
	s_cmp_lg_u64 s[6:7], 0
	s_addc_u32 s26, s26, s27
	s_mul_i32 s6, s9, s26
	s_mul_hi_u32 s7, s9, s28
	s_add_i32 s6, s7, s6
	s_mul_i32 s25, s25, s28
	s_add_i32 s6, s6, s25
	s_mul_i32 s9, s9, s28
	s_mul_hi_u32 s25, s26, s9
	s_mul_i32 s27, s26, s9
	s_mul_i32 s30, s28, s6
	s_mul_hi_u32 s9, s28, s9
	s_mul_hi_u32 s29, s28, s6
	s_add_u32 s9, s9, s30
	s_addc_u32 s29, 0, s29
	s_add_u32 s9, s9, s27
	s_mul_hi_u32 s7, s26, s6
	s_addc_u32 s9, s29, s25
	s_addc_u32 s7, s7, 0
	s_mul_i32 s6, s26, s6
	s_add_u32 s6, s9, s6
	s_addc_u32 s9, 0, s7
	s_add_u32 s25, s28, s6
	s_cselect_b64 s[6:7], -1, 0
	s_cmp_lg_u64 s[6:7], 0
	s_addc_u32 s9, s26, s9
	s_ashr_i32 s6, s5, 31
	s_add_u32 s26, s8, s6
	s_mov_b32 s7, s6
	s_addc_u32 s27, s5, s6
	s_xor_b64 s[26:27], s[26:27], s[6:7]
	s_mul_i32 s28, s26, s9
	s_mul_hi_u32 s29, s26, s25
	s_mul_hi_u32 s5, s26, s9
	s_add_u32 s28, s29, s28
	s_addc_u32 s5, 0, s5
	s_mul_hi_u32 s30, s27, s25
	s_mul_i32 s25, s27, s25
	s_add_u32 s25, s28, s25
	s_mul_hi_u32 s29, s27, s9
	s_addc_u32 s5, s5, s30
	s_addc_u32 s25, s29, 0
	s_mul_i32 s9, s27, s9
	s_add_u32 s5, s5, s9
	s_addc_u32 s9, 0, s25
	s_mul_i32 s25, s0, s9
	s_mul_hi_u32 s28, s0, s5
	s_add_i32 s25, s28, s25
	s_mul_i32 s28, s1, s5
	s_add_i32 s25, s25, s28
	s_sub_i32 s30, s27, s25
	s_mul_i32 s28, s0, s5
	s_sub_u32 s26, s26, s28
	s_cselect_b64 s[28:29], -1, 0
	s_cmp_lg_u64 s[28:29], 0
	s_subb_u32 s33, s30, s1
	s_sub_u32 s34, s26, s0
	s_cselect_b64 s[30:31], -1, 0
	s_cmp_lg_u64 s[30:31], 0
	s_subb_u32 s30, s33, 0
	s_cmp_ge_u32 s30, s1
	s_cselect_b32 s31, -1, 0
	s_cmp_ge_u32 s34, s0
	s_cselect_b32 s33, -1, 0
	s_cmp_eq_u32 s30, s1
	s_cselect_b32 s30, s33, s31
	s_add_u32 s31, s5, 1
	s_addc_u32 s33, s9, 0
	s_add_u32 s34, s5, 2
	s_addc_u32 s35, s9, 0
	s_cmp_lg_u32 s30, 0
	s_cselect_b32 s30, s34, s31
	s_cselect_b32 s31, s35, s33
	s_cmp_lg_u64 s[28:29], 0
	s_subb_u32 s25, s27, s25
	s_cmp_ge_u32 s25, s1
	s_cselect_b32 s27, -1, 0
	s_cmp_ge_u32 s26, s0
	s_cselect_b32 s0, -1, 0
	s_cmp_eq_u32 s25, s1
	s_cselect_b32 s0, s0, s27
	s_cmp_lg_u32 s0, 0
	s_cselect_b32 s1, s31, s9
	s_cselect_b32 s0, s30, s5
	s_xor_b64 s[6:7], s[6:7], 0
	s_xor_b64 s[0:1], s[0:1], s[6:7]
	s_sub_u32 s6, s0, s6
	s_cbranch_execnz .LBB16_11
.LBB16_10:
	s_sub_i32 s0, 0, s22
	v_readfirstlane_b32 s1, v4
	s_mul_i32 s0, s0, s1
	s_mul_hi_u32 s0, s1, s0
	s_add_i32 s1, s1, s0
	s_mul_hi_u32 s0, s8, s1
	s_mul_i32 s5, s0, s22
	s_sub_i32 s5, s8, s5
	s_add_i32 s1, s0, 1
	s_sub_i32 s6, s5, s22
	s_cmp_ge_u32 s5, s22
	s_cselect_b32 s0, s1, s0
	s_cselect_b32 s5, s6, s5
	s_add_i32 s1, s0, 1
	s_cmp_ge_u32 s5, s22
	s_cselect_b32 s6, s1, s0
.LBB16_11:
	s_cmp_lg_u32 s10, s6
	s_mov_b64 s[8:9], -1
                                        ; implicit-def: $sgpr0_sgpr1
                                        ; implicit-def: $vgpr10
                                        ; implicit-def: $vgpr8
                                        ; implicit-def: $vgpr9
                                        ; implicit-def: $sgpr5
                                        ; implicit-def: $sgpr7
	s_cbranch_scc1 .LBB16_14
; %bb.12:
	s_andn2_b64 vcc, exec, s[8:9]
	s_cbranch_vccz .LBB16_17
.LBB16_13:
	s_andn2_b64 vcc, exec, s[0:1]
	s_cbranch_vccnz .LBB16_18
	s_branch .LBB16_22
.LBB16_14:
	s_add_i32 s25, s24, s15
	s_add_i32 s0, s25, s22
	s_mov_b32 s1, s4
	s_lshl_b64 s[0:1], s[0:1], 3
	s_add_u32 s8, s18, s0
	s_mul_hi_u32 s0, s6, s12
	s_addc_u32 s9, s19, s1
	s_add_i32 s0, s0, s6
	s_lshr_b32 s5, s0, s13
	s_mul_i32 s0, s5, s14
	s_cmp_eq_u32 s0, s6
	s_cselect_b64 s[0:1], -1, 0
	s_cmp_lt_u32 s5, s11
	s_cselect_b64 s[26:27], -1, 0
	s_or_b64 s[26:27], s[26:27], s[0:1]
	s_mov_b64 s[0:1], -1
	s_and_b64 vcc, exec, s[26:27]
	s_mov_b32 s5, s24
	s_mov_b32 s7, s10
	s_cbranch_vccnz .LBB16_16
; %bb.15:
	s_add_i32 s5, s24, -1
	s_mov_b64 s[0:1], 0
	s_mov_b32 s7, s6
.LBB16_16:
	v_lshl_or_b32 v8, s25, 7, v0
	v_ashrrev_i32_e32 v9, 31, v8
	v_lshlrev_b64 v[8:9], 2, v[8:9]
	v_mov_b32_e32 v10, s21
	v_add_co_u32_e32 v8, vcc, s20, v8
	v_addc_co_u32_e32 v9, vcc, v10, v9, vcc
	global_load_dword v10, v[8:9], off
	s_load_dwordx2 s[8:9], s[8:9], 0x0
	v_max_f32_e32 v8, v7, v7
	s_waitcnt lgkmcnt(0)
	v_max_f32_e64 v9, s8, s8
	v_max_f32_e32 v8, v8, v9
	v_sub_f32_e32 v9, v7, v8
	v_sub_f32_e32 v11, s8, v8
	v_mul_f32_e32 v12, 0x3fb8aa3b, v9
	v_mul_f32_e32 v13, 0x3fb8aa3b, v11
	v_fma_f32 v14, v9, s2, -v12
	v_rndne_f32_e32 v15, v12
	v_fma_f32 v16, v11, s2, -v13
	v_rndne_f32_e32 v17, v13
	v_fmac_f32_e32 v14, 0x32a5705f, v9
	v_sub_f32_e32 v12, v12, v15
	v_fmac_f32_e32 v16, 0x32a5705f, v11
	v_sub_f32_e32 v13, v13, v17
	v_add_f32_e32 v12, v12, v14
	v_cvt_i32_f32_e32 v15, v15
	v_add_f32_e32 v13, v13, v16
	v_exp_f32_e32 v12, v12
	v_cvt_i32_f32_e32 v17, v17
	v_exp_f32_e32 v13, v13
	v_cmp_ngt_f32_e32 vcc, s16, v9
	v_ldexp_f32 v12, v12, v15
	v_cndmask_b32_e32 v12, 0, v12, vcc
	v_ldexp_f32 v13, v13, v17
	v_cmp_ngt_f32_e32 vcc, s16, v11
	v_cndmask_b32_e32 v13, 0, v13, vcc
	v_cmp_nlt_f32_e32 vcc, s17, v9
	v_cndmask_b32_e32 v12, v5, v12, vcc
	v_cmp_nlt_f32_e32 vcc, s17, v11
	v_cndmask_b32_e32 v13, v5, v13, vcc
	v_cmp_le_f32_e32 vcc, s23, v9
	v_cndmask_b32_e32 v12, 0, v12, vcc
	v_cmp_le_f32_e32 vcc, s23, v11
	v_cndmask_b32_e32 v11, 0, v13, vcc
	v_mul_f32_e32 v9, s9, v11
	v_fmac_f32_e32 v9, v6, v12
	s_waitcnt vmcnt(0)
	v_mul_f32_e32 v10, v10, v11
	v_fmac_f32_e32 v10, v3, v12
	s_cbranch_execnz .LBB16_13
.LBB16_17:
	s_add_i32 s5, s24, -1
	s_mov_b32 s7, s10
	v_mov_b32_e32 v9, v6
	v_mov_b32_e32 v8, v7
	s_waitcnt vmcnt(0)
	v_mov_b32_e32 v10, v3
	s_cbranch_execz .LBB16_22
.LBB16_18:
	s_mov_b32 s10, s7
	s_mov_b32 s24, s5
	v_mov_b32_e32 v6, v9
	v_mov_b32_e32 v7, v8
	s_waitcnt vmcnt(0)
	v_mov_b32_e32 v3, v10
	s_mul_hi_i32 s5, s24, s3
	s_cmp_lg_u64 s[4:5], 0
	s_mul_i32 s8, s24, s3
	s_cbranch_scc1 .LBB16_9
.LBB16_19:
                                        ; implicit-def: $sgpr6_sgpr7
	s_branch .LBB16_10
.LBB16_20:
                                        ; implicit-def: $sgpr10_sgpr11
	s_load_dwordx4 s[12:15], s[4:5], 0x44
	s_branch .LBB16_2
.LBB16_21:
                                        ; implicit-def: $sgpr18_sgpr19
	s_branch .LBB16_5
.LBB16_22:
	v_div_scale_f32 v0, s[0:1], v9, v9, v10
	s_waitcnt vmcnt(0)
	v_div_scale_f32 v3, vcc, v10, v9, v10
	v_rcp_f32_e32 v4, v0
	v_fma_f32 v5, -v0, v4, 1.0
	v_fmac_f32_e32 v4, v5, v4
	v_mul_f32_e32 v5, v3, v4
	v_fma_f32 v6, -v0, v5, v3
	v_fmac_f32_e32 v5, v6, v4
	v_fma_f32 v0, -v0, v5, v3
	v_div_fmas_f32 v0, v0, v4, v5
	v_div_fixup_f32 v0, v0, v9, v10
	global_store_dword v[1:2], v0, off
.LBB16_23:
	s_endpgm
	.section	.rodata,"a",@progbits
	.p2align	6, 0x0
	.amdhsa_kernel _ZL33flash_attn_stream_k_fixup_generalILi128ELi1ELi1EEvPfPK15HIP_vector_typeIfLj2EEiiiiS1_IjLj3EES5_S5_S5_
		.amdhsa_group_segment_fixed_size 0
		.amdhsa_private_segment_fixed_size 0
		.amdhsa_kernarg_size 336
		.amdhsa_user_sgpr_count 6
		.amdhsa_user_sgpr_private_segment_buffer 1
		.amdhsa_user_sgpr_dispatch_ptr 0
		.amdhsa_user_sgpr_queue_ptr 0
		.amdhsa_user_sgpr_kernarg_segment_ptr 1
		.amdhsa_user_sgpr_dispatch_id 0
		.amdhsa_user_sgpr_flat_scratch_init 0
		.amdhsa_user_sgpr_private_segment_size 0
		.amdhsa_uses_dynamic_stack 0
		.amdhsa_system_sgpr_private_segment_wavefront_offset 0
		.amdhsa_system_sgpr_workgroup_id_x 1
		.amdhsa_system_sgpr_workgroup_id_y 1
		.amdhsa_system_sgpr_workgroup_id_z 1
		.amdhsa_system_sgpr_workgroup_info 0
		.amdhsa_system_vgpr_workitem_id 0
		.amdhsa_next_free_vgpr 18
		.amdhsa_next_free_sgpr 36
		.amdhsa_reserve_vcc 1
		.amdhsa_reserve_flat_scratch 0
		.amdhsa_float_round_mode_32 0
		.amdhsa_float_round_mode_16_64 0
		.amdhsa_float_denorm_mode_32 3
		.amdhsa_float_denorm_mode_16_64 3
		.amdhsa_dx10_clamp 1
		.amdhsa_ieee_mode 1
		.amdhsa_fp16_overflow 0
		.amdhsa_exception_fp_ieee_invalid_op 0
		.amdhsa_exception_fp_denorm_src 0
		.amdhsa_exception_fp_ieee_div_zero 0
		.amdhsa_exception_fp_ieee_overflow 0
		.amdhsa_exception_fp_ieee_underflow 0
		.amdhsa_exception_fp_ieee_inexact 0
		.amdhsa_exception_int_div_zero 0
	.end_amdhsa_kernel
	.section	.text._ZL33flash_attn_stream_k_fixup_generalILi128ELi1ELi1EEvPfPK15HIP_vector_typeIfLj2EEiiiiS1_IjLj3EES5_S5_S5_,"axG",@progbits,_ZL33flash_attn_stream_k_fixup_generalILi128ELi1ELi1EEvPfPK15HIP_vector_typeIfLj2EEiiiiS1_IjLj3EES5_S5_S5_,comdat
.Lfunc_end16:
	.size	_ZL33flash_attn_stream_k_fixup_generalILi128ELi1ELi1EEvPfPK15HIP_vector_typeIfLj2EEiiiiS1_IjLj3EES5_S5_S5_, .Lfunc_end16-_ZL33flash_attn_stream_k_fixup_generalILi128ELi1ELi1EEvPfPK15HIP_vector_typeIfLj2EEiiiiS1_IjLj3EES5_S5_S5_
                                        ; -- End function
	.set _ZL33flash_attn_stream_k_fixup_generalILi128ELi1ELi1EEvPfPK15HIP_vector_typeIfLj2EEiiiiS1_IjLj3EES5_S5_S5_.num_vgpr, 18
	.set _ZL33flash_attn_stream_k_fixup_generalILi128ELi1ELi1EEvPfPK15HIP_vector_typeIfLj2EEiiiiS1_IjLj3EES5_S5_S5_.num_agpr, 0
	.set _ZL33flash_attn_stream_k_fixup_generalILi128ELi1ELi1EEvPfPK15HIP_vector_typeIfLj2EEiiiiS1_IjLj3EES5_S5_S5_.numbered_sgpr, 36
	.set _ZL33flash_attn_stream_k_fixup_generalILi128ELi1ELi1EEvPfPK15HIP_vector_typeIfLj2EEiiiiS1_IjLj3EES5_S5_S5_.num_named_barrier, 0
	.set _ZL33flash_attn_stream_k_fixup_generalILi128ELi1ELi1EEvPfPK15HIP_vector_typeIfLj2EEiiiiS1_IjLj3EES5_S5_S5_.private_seg_size, 0
	.set _ZL33flash_attn_stream_k_fixup_generalILi128ELi1ELi1EEvPfPK15HIP_vector_typeIfLj2EEiiiiS1_IjLj3EES5_S5_S5_.uses_vcc, 1
	.set _ZL33flash_attn_stream_k_fixup_generalILi128ELi1ELi1EEvPfPK15HIP_vector_typeIfLj2EEiiiiS1_IjLj3EES5_S5_S5_.uses_flat_scratch, 0
	.set _ZL33flash_attn_stream_k_fixup_generalILi128ELi1ELi1EEvPfPK15HIP_vector_typeIfLj2EEiiiiS1_IjLj3EES5_S5_S5_.has_dyn_sized_stack, 0
	.set _ZL33flash_attn_stream_k_fixup_generalILi128ELi1ELi1EEvPfPK15HIP_vector_typeIfLj2EEiiiiS1_IjLj3EES5_S5_S5_.has_recursion, 0
	.set _ZL33flash_attn_stream_k_fixup_generalILi128ELi1ELi1EEvPfPK15HIP_vector_typeIfLj2EEiiiiS1_IjLj3EES5_S5_S5_.has_indirect_call, 0
	.section	.AMDGPU.csdata,"",@progbits
; Kernel info:
; codeLenInByte = 2896
; TotalNumSgprs: 40
; NumVgprs: 18
; ScratchSize: 0
; MemoryBound: 0
; FloatMode: 240
; IeeeMode: 1
; LDSByteSize: 0 bytes/workgroup (compile time only)
; SGPRBlocks: 4
; VGPRBlocks: 4
; NumSGPRsForWavesPerEU: 40
; NumVGPRsForWavesPerEU: 18
; Occupancy: 10
; WaveLimiterHint : 0
; COMPUTE_PGM_RSRC2:SCRATCH_EN: 0
; COMPUTE_PGM_RSRC2:USER_SGPR: 6
; COMPUTE_PGM_RSRC2:TRAP_HANDLER: 0
; COMPUTE_PGM_RSRC2:TGID_X_EN: 1
; COMPUTE_PGM_RSRC2:TGID_Y_EN: 1
; COMPUTE_PGM_RSRC2:TGID_Z_EN: 1
; COMPUTE_PGM_RSRC2:TIDIG_COMP_CNT: 0
	.section	.text._ZL26flash_attn_combine_resultsILi128EEvPKfPK15HIP_vector_typeIfLj2EEPfi,"axG",@progbits,_ZL26flash_attn_combine_resultsILi128EEvPKfPK15HIP_vector_typeIfLj2EEPfi,comdat
	.globl	_ZL26flash_attn_combine_resultsILi128EEvPKfPK15HIP_vector_typeIfLj2EEPfi ; -- Begin function _ZL26flash_attn_combine_resultsILi128EEvPKfPK15HIP_vector_typeIfLj2EEPfi
	.p2align	8
	.type	_ZL26flash_attn_combine_resultsILi128EEvPKfPK15HIP_vector_typeIfLj2EEPfi,@function
_ZL26flash_attn_combine_resultsILi128EEvPKfPK15HIP_vector_typeIfLj2EEPfi: ; @_ZL26flash_attn_combine_resultsILi128EEvPKfPK15HIP_vector_typeIfLj2EEPfi
; %bb.0:
	s_load_dwordx2 s[12:13], s[4:5], 0x20
	s_load_dword s9, s[4:5], 0x18
	s_load_dwordx4 s[0:3], s[4:5], 0x0
	s_load_dwordx2 s[10:11], s[4:5], 0x10
	v_lshlrev_b32_e32 v4, 2, v0
	s_waitcnt lgkmcnt(0)
	s_mul_i32 s4, s12, s8
	s_add_i32 s4, s4, s6
	s_mul_i32 s8, s4, s13
	s_add_i32 s8, s8, s7
	s_lshl_b32 s12, s9, 1
	s_mul_i32 s4, s8, s9
	v_cmp_gt_i32_e32 vcc, s12, v0
	s_and_saveexec_b64 s[6:7], vcc
	s_cbranch_execz .LBB17_3
; %bb.1:
	s_ashr_i32 s5, s4, 31
	s_lshl_b64 s[14:15], s[4:5], 3
	s_add_u32 s2, s2, s14
	s_addc_u32 s3, s3, s15
	v_mov_b32_e32 v2, s3
	v_add_co_u32_e32 v1, vcc, s2, v4
	v_addc_co_u32_e32 v2, vcc, 0, v2, vcc
	v_add_u32_e32 v3, 0, v4
	s_mov_b64 s[2:3], 0
	v_mov_b32_e32 v5, v0
.LBB17_2:                               ; =>This Inner Loop Header: Depth=1
	global_load_dword v6, v[1:2], off
	v_add_co_u32_e32 v1, vcc, 0x200, v1
	v_add_u32_e32 v5, 0x80, v5
	v_addc_co_u32_e32 v2, vcc, 0, v2, vcc
	v_cmp_le_i32_e32 vcc, s12, v5
	s_or_b64 s[2:3], vcc, s[2:3]
	s_waitcnt vmcnt(0)
	ds_write_b32 v3, v6
	v_add_u32_e32 v3, 0x200, v3
	s_andn2_b64 exec, exec, s[2:3]
	s_cbranch_execnz .LBB17_2
.LBB17_3:
	s_or_b64 exec, exec, s[6:7]
	v_mov_b32_e32 v1, 0
	s_waitcnt lgkmcnt(0)
	s_barrier
	ds_read_b32 v5, v1
	s_cmp_lt_i32 s9, 2
	s_cbranch_scc1 .LBB17_11
; %bb.4:
	s_add_i32 s2, s9, -1
	s_add_i32 s3, s9, -2
	s_cmp_lt_u32 s3, 7
	s_cbranch_scc1 .LBB17_8
; %bb.5:
	s_mov_b32 s6, 0
	s_add_i32 s3, 0, 8
	s_and_b32 s5, s2, -8
.LBB17_6:                               ; =>This Inner Loop Header: Depth=1
	v_mov_b32_e32 v3, s3
	ds_read2_b32 v[1:2], v3 offset1:2
	ds_read2_b32 v[6:7], v3 offset0:4 offset1:6
	ds_read2_b32 v[8:9], v3 offset0:8 offset1:10
	;; [unrolled: 1-line block ×3, first 2 shown]
	s_mov_b32 s7, s6
	s_waitcnt lgkmcnt(3)
	v_max3_f32 v1, v5, v1, v2
	s_waitcnt lgkmcnt(2)
	v_max3_f32 v1, v1, v6, v7
	s_add_i32 s3, s3, 64
	s_add_i32 s6, s6, 8
	s_waitcnt lgkmcnt(1)
	v_max3_f32 v1, v1, v8, v9
	s_cmp_eq_u32 s5, s6
	s_waitcnt lgkmcnt(0)
	v_max3_f32 v5, v1, v10, v11
	s_cbranch_scc0 .LBB17_6
; %bb.7:
	s_add_i32 s3, s7, 9
	s_and_b32 s2, s2, 7
	s_cmp_eq_u32 s2, 0
	s_cbranch_scc0 .LBB17_9
	s_branch .LBB17_11
.LBB17_8:
	s_mov_b32 s3, 1
	s_and_b32 s2, s2, 7
	s_cmp_eq_u32 s2, 0
	s_cbranch_scc1 .LBB17_11
.LBB17_9:
	s_lshl_b32 s3, s3, 3
	s_add_i32 s3, s3, 0
.LBB17_10:                              ; =>This Inner Loop Header: Depth=1
	v_mov_b32_e32 v1, s3
	ds_read_b32 v1, v1
	s_waitcnt lgkmcnt(1)
	v_max_f32_e32 v2, v5, v5
	s_add_i32 s3, s3, 8
	s_add_i32 s2, s2, -1
	s_cmp_lg_u32 s2, 0
	s_waitcnt lgkmcnt(0)
	v_max_f32_e32 v1, v1, v1
	v_max_f32_e32 v5, v2, v1
	s_cbranch_scc1 .LBB17_10
.LBB17_11:
	s_cmp_lt_i32 s9, 1
	s_cbranch_scc1 .LBB17_16
; %bb.12:
	s_lshl_b32 s2, s4, 7
	s_ashr_i32 s3, s2, 31
	s_lshl_b64 s[2:3], s[2:3], 2
	s_add_u32 s0, s0, s2
	s_addc_u32 s1, s1, s3
	s_cmp_lt_u32 s9, 8
	s_cbranch_scc1 .LBB17_17
; %bb.13:
	s_and_b32 s2, s9, 0x7ffffff8
	v_or_b32_e32 v1, 0x380, v0
	s_mov_b32 s3, 0
	v_mov_b32_e32 v3, 0
	v_mov_b32_e32 v6, 0
	s_mov_b32 s4, 0x3fb8aa3b
	s_mov_b32 s5, 0xc2ce8ed0
	;; [unrolled: 1-line block ×3, first 2 shown]
	v_mov_b32_e32 v8, 0x7f800000
	v_mov_b32_e32 v9, s1
	s_mov_b32 s7, 0
	v_mov_b32_e32 v7, 0
.LBB17_14:                              ; =>This Inner Loop Header: Depth=1
	v_mov_b32_e32 v16, s3
	ds_read2_b64 v[10:13], v16 offset1:1
	s_add_i32 s7, s7, 8
	s_add_i32 s3, s3, 64
	s_cmp_eq_u32 s2, s7
	s_waitcnt lgkmcnt(0)
	v_sub_f32_e32 v2, v10, v5
	v_mul_f32_e32 v10, 0x3fb8aa3b, v2
	v_fma_f32 v14, v2, s4, -v10
	v_rndne_f32_e32 v15, v10
	v_fmac_f32_e32 v14, 0x32a5705f, v2
	v_sub_f32_e32 v10, v10, v15
	v_add_f32_e32 v10, v10, v14
	v_exp_f32_e32 v10, v10
	v_cvt_i32_f32_e32 v14, v15
	v_cmp_ngt_f32_e32 vcc, s5, v2
	v_ldexp_f32 v10, v10, v14
	v_cndmask_b32_e32 v10, 0, v10, vcc
	v_cmp_nlt_f32_e32 vcc, s6, v2
	v_add_u32_e32 v2, 0xfffffc80, v1
	v_lshlrev_b64 v[14:15], 2, v[2:3]
	v_cndmask_b32_e32 v10, v8, v10, vcc
	v_add_co_u32_e32 v14, vcc, s0, v14
	v_addc_co_u32_e32 v15, vcc, v9, v15, vcc
	global_load_dword v2, v[14:15], off
	v_fmac_f32_e32 v7, v10, v11
	s_waitcnt vmcnt(0)
	v_fmac_f32_e32 v6, v2, v10
	v_sub_f32_e32 v2, v12, v5
	v_mul_f32_e32 v10, 0x3fb8aa3b, v2
	v_fma_f32 v11, v2, s4, -v10
	v_rndne_f32_e32 v12, v10
	v_fmac_f32_e32 v11, 0x32a5705f, v2
	v_sub_f32_e32 v10, v10, v12
	v_add_f32_e32 v10, v10, v11
	v_exp_f32_e32 v10, v10
	v_cvt_i32_f32_e32 v11, v12
	v_cmp_ngt_f32_e32 vcc, s5, v2
	v_ldexp_f32 v10, v10, v11
	v_cndmask_b32_e32 v10, 0, v10, vcc
	v_cmp_nlt_f32_e32 vcc, s6, v2
	v_add_u32_e32 v2, 0xfffffd00, v1
	v_cndmask_b32_e32 v12, v8, v10, vcc
	v_lshlrev_b64 v[10:11], 2, v[2:3]
	v_fmac_f32_e32 v7, v12, v13
	v_add_co_u32_e32 v10, vcc, s0, v10
	v_addc_co_u32_e32 v11, vcc, v9, v11, vcc
	global_load_dword v2, v[10:11], off
	s_waitcnt vmcnt(0)
	v_fmac_f32_e32 v6, v2, v12
	ds_read2_b64 v[10:13], v16 offset0:2 offset1:3
	s_waitcnt lgkmcnt(0)
	v_sub_f32_e32 v2, v10, v5
	v_mul_f32_e32 v10, 0x3fb8aa3b, v2
	v_fma_f32 v14, v2, s4, -v10
	v_rndne_f32_e32 v15, v10
	v_fmac_f32_e32 v14, 0x32a5705f, v2
	v_sub_f32_e32 v10, v10, v15
	v_add_f32_e32 v10, v10, v14
	v_exp_f32_e32 v10, v10
	v_cvt_i32_f32_e32 v14, v15
	v_cmp_ngt_f32_e32 vcc, s5, v2
	v_ldexp_f32 v10, v10, v14
	v_cndmask_b32_e32 v10, 0, v10, vcc
	v_cmp_nlt_f32_e32 vcc, s6, v2
	v_add_u32_e32 v2, 0xfffffd80, v1
	v_lshlrev_b64 v[14:15], 2, v[2:3]
	v_cndmask_b32_e32 v10, v8, v10, vcc
	v_add_co_u32_e32 v14, vcc, s0, v14
	v_addc_co_u32_e32 v15, vcc, v9, v15, vcc
	global_load_dword v2, v[14:15], off
	v_fmac_f32_e32 v7, v10, v11
	s_waitcnt vmcnt(0)
	v_fmac_f32_e32 v6, v2, v10
	v_sub_f32_e32 v2, v12, v5
	v_mul_f32_e32 v10, 0x3fb8aa3b, v2
	v_fma_f32 v11, v2, s4, -v10
	v_rndne_f32_e32 v12, v10
	v_fmac_f32_e32 v11, 0x32a5705f, v2
	v_sub_f32_e32 v10, v10, v12
	v_add_f32_e32 v10, v10, v11
	v_exp_f32_e32 v10, v10
	v_cvt_i32_f32_e32 v11, v12
	v_cmp_ngt_f32_e32 vcc, s5, v2
	v_ldexp_f32 v10, v10, v11
	v_cndmask_b32_e32 v10, 0, v10, vcc
	v_cmp_nlt_f32_e32 vcc, s6, v2
	v_add_u32_e32 v2, 0xfffffe00, v1
	v_cndmask_b32_e32 v12, v8, v10, vcc
	v_lshlrev_b64 v[10:11], 2, v[2:3]
	v_fmac_f32_e32 v7, v12, v13
	v_add_co_u32_e32 v10, vcc, s0, v10
	v_addc_co_u32_e32 v11, vcc, v9, v11, vcc
	global_load_dword v2, v[10:11], off
	s_waitcnt vmcnt(0)
	v_fmac_f32_e32 v6, v2, v12
	ds_read2_b64 v[10:13], v16 offset0:4 offset1:5
	s_waitcnt lgkmcnt(0)
	v_sub_f32_e32 v2, v10, v5
	v_mul_f32_e32 v10, 0x3fb8aa3b, v2
	v_fma_f32 v14, v2, s4, -v10
	v_rndne_f32_e32 v15, v10
	v_fmac_f32_e32 v14, 0x32a5705f, v2
	v_sub_f32_e32 v10, v10, v15
	v_add_f32_e32 v10, v10, v14
	v_exp_f32_e32 v10, v10
	v_cvt_i32_f32_e32 v14, v15
	v_cmp_ngt_f32_e32 vcc, s5, v2
	v_ldexp_f32 v10, v10, v14
	v_cndmask_b32_e32 v10, 0, v10, vcc
	v_cmp_nlt_f32_e32 vcc, s6, v2
	v_add_u32_e32 v2, 0xfffffe80, v1
	v_lshlrev_b64 v[14:15], 2, v[2:3]
	v_cndmask_b32_e32 v10, v8, v10, vcc
	v_add_co_u32_e32 v14, vcc, s0, v14
	v_addc_co_u32_e32 v15, vcc, v9, v15, vcc
	global_load_dword v2, v[14:15], off
	v_fmac_f32_e32 v7, v10, v11
	s_waitcnt vmcnt(0)
	v_fmac_f32_e32 v6, v2, v10
	v_sub_f32_e32 v2, v12, v5
	v_mul_f32_e32 v10, 0x3fb8aa3b, v2
	v_fma_f32 v11, v2, s4, -v10
	v_rndne_f32_e32 v12, v10
	v_fmac_f32_e32 v11, 0x32a5705f, v2
	v_sub_f32_e32 v10, v10, v12
	v_add_f32_e32 v10, v10, v11
	v_exp_f32_e32 v10, v10
	v_cvt_i32_f32_e32 v11, v12
	v_cmp_ngt_f32_e32 vcc, s5, v2
	v_ldexp_f32 v10, v10, v11
	v_cndmask_b32_e32 v10, 0, v10, vcc
	v_cmp_nlt_f32_e32 vcc, s6, v2
	v_add_u32_e32 v2, 0xffffff00, v1
	v_cndmask_b32_e32 v12, v8, v10, vcc
	v_lshlrev_b64 v[10:11], 2, v[2:3]
	v_fmac_f32_e32 v7, v12, v13
	v_add_co_u32_e32 v10, vcc, s0, v10
	v_addc_co_u32_e32 v11, vcc, v9, v11, vcc
	global_load_dword v2, v[10:11], off
	s_waitcnt vmcnt(0)
	v_fmac_f32_e32 v6, v2, v12
	ds_read2_b64 v[10:13], v16 offset0:6 offset1:7
	s_waitcnt lgkmcnt(0)
	v_sub_f32_e32 v2, v10, v5
	v_mul_f32_e32 v10, 0x3fb8aa3b, v2
	v_fma_f32 v14, v2, s4, -v10
	v_rndne_f32_e32 v15, v10
	v_fmac_f32_e32 v14, 0x32a5705f, v2
	v_sub_f32_e32 v10, v10, v15
	v_add_f32_e32 v10, v10, v14
	v_exp_f32_e32 v10, v10
	v_cvt_i32_f32_e32 v14, v15
	v_cmp_ngt_f32_e32 vcc, s5, v2
	v_ldexp_f32 v10, v10, v14
	v_cndmask_b32_e32 v10, 0, v10, vcc
	v_cmp_nlt_f32_e32 vcc, s6, v2
	v_add_u32_e32 v2, 0xffffff80, v1
	v_lshlrev_b64 v[14:15], 2, v[2:3]
	v_cndmask_b32_e32 v10, v8, v10, vcc
	v_add_co_u32_e32 v14, vcc, s0, v14
	v_addc_co_u32_e32 v15, vcc, v9, v15, vcc
	global_load_dword v2, v[14:15], off
	v_fmac_f32_e32 v7, v10, v11
	s_waitcnt vmcnt(0)
	v_fmac_f32_e32 v6, v2, v10
	v_sub_f32_e32 v2, v12, v5
	v_mul_f32_e32 v10, 0x3fb8aa3b, v2
	v_fma_f32 v11, v2, s4, -v10
	v_rndne_f32_e32 v12, v10
	v_fmac_f32_e32 v11, 0x32a5705f, v2
	v_sub_f32_e32 v10, v10, v12
	v_add_f32_e32 v10, v10, v11
	v_exp_f32_e32 v10, v10
	v_cvt_i32_f32_e32 v11, v12
	v_cmp_ngt_f32_e32 vcc, s5, v2
	v_ldexp_f32 v10, v10, v11
	v_cndmask_b32_e32 v10, 0, v10, vcc
	v_cmp_nlt_f32_e32 vcc, s6, v2
	v_mov_b32_e32 v2, v3
	v_cndmask_b32_e32 v12, v8, v10, vcc
	v_lshlrev_b64 v[10:11], 2, v[1:2]
	v_fmac_f32_e32 v7, v12, v13
	v_add_co_u32_e32 v10, vcc, s0, v10
	v_addc_co_u32_e32 v11, vcc, v9, v11, vcc
	global_load_dword v2, v[10:11], off
	v_add_u32_e32 v1, 0x400, v1
	s_waitcnt vmcnt(0)
	v_fmac_f32_e32 v6, v2, v12
	s_cbranch_scc0 .LBB17_14
; %bb.15:
	s_and_b32 s3, s9, 7
	s_cmp_eq_u32 s3, 0
	s_cbranch_scc0 .LBB17_18
	s_branch .LBB17_20
.LBB17_16:
	v_mov_b32_e32 v0, 0x7fc00000
	s_branch .LBB17_21
.LBB17_17:
	s_mov_b32 s2, 0
	v_mov_b32_e32 v6, 0
	v_mov_b32_e32 v7, 0
	s_and_b32 s3, s9, 7
	s_cmp_eq_u32 s3, 0
	s_cbranch_scc1 .LBB17_20
.LBB17_18:
	v_lshl_or_b32 v0, s2, 7, v0
	s_lshl_b32 s2, s2, 3
	s_add_i32 s2, s2, 0
	s_mov_b32 s4, 0x3fb8aa3b
	s_mov_b32 s5, 0xc2ce8ed0
	;; [unrolled: 1-line block ×3, first 2 shown]
	v_mov_b32_e32 v2, 0x7f800000
	v_mov_b32_e32 v1, 0
	;; [unrolled: 1-line block ×3, first 2 shown]
.LBB17_19:                              ; =>This Inner Loop Header: Depth=1
	v_lshlrev_b64 v[8:9], 2, v[0:1]
	s_add_i32 s3, s3, -1
	v_add_co_u32_e32 v8, vcc, s0, v8
	v_addc_co_u32_e32 v9, vcc, v3, v9, vcc
	global_load_dword v10, v[8:9], off
	v_mov_b32_e32 v8, s2
	ds_read_b64 v[8:9], v8
	s_add_i32 s2, s2, 8
	v_add_u32_e32 v0, 0x80, v0
	s_cmp_lg_u32 s3, 0
	s_waitcnt lgkmcnt(0)
	v_sub_f32_e32 v8, v8, v5
	v_mul_f32_e32 v11, 0x3fb8aa3b, v8
	v_fma_f32 v12, v8, s4, -v11
	v_rndne_f32_e32 v13, v11
	v_fmac_f32_e32 v12, 0x32a5705f, v8
	v_sub_f32_e32 v11, v11, v13
	v_add_f32_e32 v11, v11, v12
	v_cvt_i32_f32_e32 v13, v13
	v_exp_f32_e32 v11, v11
	v_cmp_ngt_f32_e32 vcc, s5, v8
	v_ldexp_f32 v11, v11, v13
	v_cndmask_b32_e32 v11, 0, v11, vcc
	v_cmp_nlt_f32_e32 vcc, s6, v8
	v_cndmask_b32_e32 v8, v2, v11, vcc
	v_fmac_f32_e32 v7, v8, v9
	s_waitcnt vmcnt(0)
	v_fmac_f32_e32 v6, v10, v8
	s_cbranch_scc1 .LBB17_19
.LBB17_20:
	v_div_scale_f32 v0, s[0:1], v7, v7, v6
	v_div_scale_f32 v1, vcc, v6, v7, v6
	v_rcp_f32_e32 v2, v0
	v_fma_f32 v3, -v0, v2, 1.0
	v_fmac_f32_e32 v2, v3, v2
	v_mul_f32_e32 v3, v1, v2
	s_waitcnt lgkmcnt(0)
	v_fma_f32 v5, -v0, v3, v1
	v_fmac_f32_e32 v3, v5, v2
	v_fma_f32 v0, -v0, v3, v1
	v_div_fmas_f32 v0, v0, v2, v3
	v_div_fixup_f32 v0, v0, v7, v6
.LBB17_21:
	s_lshl_b32 s0, s8, 7
	s_ashr_i32 s1, s0, 31
	s_lshl_b64 s[0:1], s[0:1], 2
	s_add_u32 s0, s10, s0
	s_addc_u32 s1, s11, s1
	global_store_dword v4, v0, s[0:1]
	s_endpgm
	.section	.rodata,"a",@progbits
	.p2align	6, 0x0
	.amdhsa_kernel _ZL26flash_attn_combine_resultsILi128EEvPKfPK15HIP_vector_typeIfLj2EEPfi
		.amdhsa_group_segment_fixed_size 0
		.amdhsa_private_segment_fixed_size 0
		.amdhsa_kernarg_size 288
		.amdhsa_user_sgpr_count 6
		.amdhsa_user_sgpr_private_segment_buffer 1
		.amdhsa_user_sgpr_dispatch_ptr 0
		.amdhsa_user_sgpr_queue_ptr 0
		.amdhsa_user_sgpr_kernarg_segment_ptr 1
		.amdhsa_user_sgpr_dispatch_id 0
		.amdhsa_user_sgpr_flat_scratch_init 0
		.amdhsa_user_sgpr_private_segment_size 0
		.amdhsa_uses_dynamic_stack 0
		.amdhsa_system_sgpr_private_segment_wavefront_offset 0
		.amdhsa_system_sgpr_workgroup_id_x 1
		.amdhsa_system_sgpr_workgroup_id_y 1
		.amdhsa_system_sgpr_workgroup_id_z 1
		.amdhsa_system_sgpr_workgroup_info 0
		.amdhsa_system_vgpr_workitem_id 0
		.amdhsa_next_free_vgpr 17
		.amdhsa_next_free_sgpr 16
		.amdhsa_reserve_vcc 1
		.amdhsa_reserve_flat_scratch 0
		.amdhsa_float_round_mode_32 0
		.amdhsa_float_round_mode_16_64 0
		.amdhsa_float_denorm_mode_32 3
		.amdhsa_float_denorm_mode_16_64 3
		.amdhsa_dx10_clamp 1
		.amdhsa_ieee_mode 1
		.amdhsa_fp16_overflow 0
		.amdhsa_exception_fp_ieee_invalid_op 0
		.amdhsa_exception_fp_denorm_src 0
		.amdhsa_exception_fp_ieee_div_zero 0
		.amdhsa_exception_fp_ieee_overflow 0
		.amdhsa_exception_fp_ieee_underflow 0
		.amdhsa_exception_fp_ieee_inexact 0
		.amdhsa_exception_int_div_zero 0
	.end_amdhsa_kernel
	.section	.text._ZL26flash_attn_combine_resultsILi128EEvPKfPK15HIP_vector_typeIfLj2EEPfi,"axG",@progbits,_ZL26flash_attn_combine_resultsILi128EEvPKfPK15HIP_vector_typeIfLj2EEPfi,comdat
.Lfunc_end17:
	.size	_ZL26flash_attn_combine_resultsILi128EEvPKfPK15HIP_vector_typeIfLj2EEPfi, .Lfunc_end17-_ZL26flash_attn_combine_resultsILi128EEvPKfPK15HIP_vector_typeIfLj2EEPfi
                                        ; -- End function
	.set _ZL26flash_attn_combine_resultsILi128EEvPKfPK15HIP_vector_typeIfLj2EEPfi.num_vgpr, 17
	.set _ZL26flash_attn_combine_resultsILi128EEvPKfPK15HIP_vector_typeIfLj2EEPfi.num_agpr, 0
	.set _ZL26flash_attn_combine_resultsILi128EEvPKfPK15HIP_vector_typeIfLj2EEPfi.numbered_sgpr, 16
	.set _ZL26flash_attn_combine_resultsILi128EEvPKfPK15HIP_vector_typeIfLj2EEPfi.num_named_barrier, 0
	.set _ZL26flash_attn_combine_resultsILi128EEvPKfPK15HIP_vector_typeIfLj2EEPfi.private_seg_size, 0
	.set _ZL26flash_attn_combine_resultsILi128EEvPKfPK15HIP_vector_typeIfLj2EEPfi.uses_vcc, 1
	.set _ZL26flash_attn_combine_resultsILi128EEvPKfPK15HIP_vector_typeIfLj2EEPfi.uses_flat_scratch, 0
	.set _ZL26flash_attn_combine_resultsILi128EEvPKfPK15HIP_vector_typeIfLj2EEPfi.has_dyn_sized_stack, 0
	.set _ZL26flash_attn_combine_resultsILi128EEvPKfPK15HIP_vector_typeIfLj2EEPfi.has_recursion, 0
	.set _ZL26flash_attn_combine_resultsILi128EEvPKfPK15HIP_vector_typeIfLj2EEPfi.has_indirect_call, 0
	.section	.AMDGPU.csdata,"",@progbits
; Kernel info:
; codeLenInByte = 1908
; TotalNumSgprs: 20
; NumVgprs: 17
; ScratchSize: 0
; MemoryBound: 0
; FloatMode: 240
; IeeeMode: 1
; LDSByteSize: 0 bytes/workgroup (compile time only)
; SGPRBlocks: 2
; VGPRBlocks: 4
; NumSGPRsForWavesPerEU: 20
; NumVGPRsForWavesPerEU: 17
; Occupancy: 10
; WaveLimiterHint : 0
; COMPUTE_PGM_RSRC2:SCRATCH_EN: 0
; COMPUTE_PGM_RSRC2:USER_SGPR: 6
; COMPUTE_PGM_RSRC2:TRAP_HANDLER: 0
; COMPUTE_PGM_RSRC2:TGID_X_EN: 1
; COMPUTE_PGM_RSRC2:TGID_Y_EN: 1
; COMPUTE_PGM_RSRC2:TGID_Z_EN: 1
; COMPUTE_PGM_RSRC2:TIDIG_COMP_CNT: 0
	.section	.text._ZL18flash_attn_ext_vecILi128ELi1EL9ggml_type2ELS0_8ELb1EEvPKcS2_S2_S2_S2_PKiPfP15HIP_vector_typeIfLj2EEffffjfiS6_IjLj3EEiiiiiiiiiiiliiliiiiil,"axG",@progbits,_ZL18flash_attn_ext_vecILi128ELi1EL9ggml_type2ELS0_8ELb1EEvPKcS2_S2_S2_S2_PKiPfP15HIP_vector_typeIfLj2EEffffjfiS6_IjLj3EEiiiiiiiiiiiliiliiiiil,comdat
	.globl	_ZL18flash_attn_ext_vecILi128ELi1EL9ggml_type2ELS0_8ELb1EEvPKcS2_S2_S2_S2_PKiPfP15HIP_vector_typeIfLj2EEffffjfiS6_IjLj3EEiiiiiiiiiiiliiliiiiil ; -- Begin function _ZL18flash_attn_ext_vecILi128ELi1EL9ggml_type2ELS0_8ELb1EEvPKcS2_S2_S2_S2_PKiPfP15HIP_vector_typeIfLj2EEffffjfiS6_IjLj3EEiiiiiiiiiiiliiliiiiil
	.p2align	8
	.type	_ZL18flash_attn_ext_vecILi128ELi1EL9ggml_type2ELS0_8ELb1EEvPKcS2_S2_S2_S2_PKiPfP15HIP_vector_typeIfLj2EEffffjfiS6_IjLj3EEiiiiiiiiiiiliiliiiiil,@function
_ZL18flash_attn_ext_vecILi128ELi1EL9ggml_type2ELS0_8ELb1EEvPKcS2_S2_S2_S2_PKiPfP15HIP_vector_typeIfLj2EEffffjfiS6_IjLj3EEiiiiiiiiiiiliiliiiiil: ; @_ZL18flash_attn_ext_vecILi128ELi1EL9ggml_type2ELS0_8ELb1EEvPKcS2_S2_S2_S2_PKiPfP15HIP_vector_typeIfLj2EEffffjfiS6_IjLj3EEiiiiiiiiiiiliiliiiiil
; %bb.0:
	s_load_dwordx2 s[34:35], s[4:5], 0x64
	s_load_dwordx2 s[42:43], s[4:5], 0x80
	;; [unrolled: 1-line block ×3, first 2 shown]
	v_mov_b32_e32 v33, 1.0
	s_waitcnt lgkmcnt(0)
	v_cvt_f32_u32_e32 v2, s35
	s_sub_i32 s0, 0, s35
	v_rcp_iflag_f32_e32 v2, v2
	v_mul_f32_e32 v2, 0x4f7ffffe, v2
	v_cvt_u32_f32_e32 v2, v2
	v_readfirstlane_b32 s1, v2
	s_mul_i32 s0, s0, s1
	s_mul_hi_u32 s0, s1, s0
	s_add_i32 s1, s1, s0
	s_mul_hi_u32 s0, s8, s1
	s_mul_i32 s1, s0, s35
	s_sub_i32 s1, s8, s1
	s_add_i32 s2, s0, 1
	s_sub_i32 s3, s1, s35
	s_cmp_ge_u32 s1, s35
	s_cselect_b32 s0, s2, s0
	s_cselect_b32 s1, s3, s1
	s_add_i32 s2, s0, 1
	s_cmp_ge_u32 s1, s35
	s_cselect_b32 s33, s2, s0
	s_abs_i32 s0, s43
	v_cvt_f32_u32_e32 v2, s0
	s_mul_i32 s3, s33, s35
	s_sub_i32 s9, 0, s0
	s_sub_i32 s40, s8, s3
	v_rcp_iflag_f32_e32 v2, v2
	s_abs_i32 s2, s35
	s_xor_b32 s1, s35, s43
	s_ashr_i32 s1, s1, 31
	v_mul_f32_e32 v2, 0x4f7ffffe, v2
	v_cvt_u32_f32_e32 v2, v2
	v_readfirstlane_b32 s3, v2
	s_mul_i32 s9, s9, s3
	s_mul_hi_u32 s8, s3, s9
	s_add_i32 s3, s3, s8
	s_mul_hi_u32 s3, s2, s3
	s_mul_i32 s8, s3, s0
	s_sub_i32 s2, s2, s8
	s_add_i32 s9, s3, 1
	s_sub_i32 s8, s2, s0
	s_cmp_ge_u32 s2, s0
	s_cselect_b32 s3, s9, s3
	s_cselect_b32 s2, s8, s2
	s_add_i32 s8, s3, 1
	s_cmp_ge_u32 s2, s0
	s_cselect_b32 s0, s8, s3
	s_xor_b32 s0, s0, s1
	s_sub_i32 s36, s0, s1
	s_abs_i32 s14, s14
	s_abs_i32 s46, s36
	v_cvt_f32_u32_e32 v2, s14
	v_cvt_f32_u32_e32 v3, s46
	s_load_dwordx4 s[8:11], s[4:5], 0x40
	s_load_dwordx2 s[44:45], s[4:5], 0x50
	s_sub_i32 s0, 0, s14
	v_rcp_iflag_f32_e32 v2, v2
	v_rcp_iflag_f32_e32 v3, v3
	s_sub_i32 s1, 0, s46
	s_abs_i32 s47, s40
	v_mul_f32_e32 v2, 0x4f7ffffe, v2
	v_mul_f32_e32 v3, 0x4f7ffffe, v3
	v_cvt_u32_f32_e32 v2, v2
	v_cvt_u32_f32_e32 v3, v3
	s_abs_i32 s43, s33
	v_readfirstlane_b32 s13, v2
	v_readfirstlane_b32 s12, v3
	s_mul_i32 s1, s1, s12
	s_mul_i32 s0, s0, s13
	s_mul_hi_u32 s1, s12, s1
	s_mul_hi_u32 s0, s13, s0
	s_add_i32 s12, s12, s1
	s_add_i32 s13, s13, s0
	s_waitcnt lgkmcnt(0)
	v_cmp_le_f32_e64 s[0:1], s9, 0
	s_and_b64 vcc, exec, s[0:1]
	s_cbranch_vccnz .LBB18_2
; %bb.1:
	v_mov_b32_e32 v2, s44
	v_sub_co_u32_e32 v2, vcc, s40, v2
	v_mov_b32_e32 v3, s11
	v_mov_b32_e32 v4, s10
	s_add_i32 s0, s40, 1
	v_lshlrev_b32_e32 v2, 1, v2
	v_cndmask_b32_e32 v3, v3, v4, vcc
	v_or_b32_e32 v2, 1, v2
	v_mov_b32_e32 v4, s0
	v_cndmask_b32_e32 v2, v2, v4, vcc
	v_cvt_f32_i32_e32 v2, v2
	v_cmp_neq_f32_e32 vcc, 1.0, v3
	s_mov_b32 s0, 0x3f2aaaab
	s_movk_i32 s2, 0x204
	v_cndmask_b32_e32 v4, 1.0, v2, vcc
	v_cmp_neq_f32_e32 vcc, 0, v4
	v_cndmask_b32_e32 v5, 1.0, v3, vcc
	v_frexp_mant_f32_e64 v2, |v5|
	v_cmp_gt_f32_e32 vcc, s0, v2
	v_cndmask_b32_e64 v3, 1.0, 2.0, vcc
	v_mul_f32_e32 v2, v2, v3
	v_add_f32_e32 v3, 1.0, v2
	v_rcp_f32_e32 v6, v3
	v_add_f32_e32 v7, -1.0, v2
	v_add_f32_e32 v8, -1.0, v3
	v_sub_f32_e32 v2, v2, v8
	v_mul_f32_e32 v8, v7, v6
	v_mul_f32_e32 v9, v3, v8
	v_fma_f32 v3, v8, v3, -v9
	v_fmac_f32_e32 v3, v8, v2
	v_add_f32_e32 v2, v9, v3
	v_sub_f32_e32 v10, v7, v2
	v_sub_f32_e32 v9, v2, v9
	;; [unrolled: 1-line block ×5, first 2 shown]
	v_add_f32_e32 v2, v3, v2
	v_add_f32_e32 v2, v10, v2
	v_mul_f32_e32 v2, v6, v2
	v_add_f32_e32 v6, v8, v2
	v_sub_f32_e32 v3, v6, v8
	v_sub_f32_e32 v7, v2, v3
	v_mul_f32_e32 v2, v6, v6
	v_fma_f32 v3, v6, v6, -v2
	v_add_f32_e32 v8, v7, v7
	v_fmac_f32_e32 v3, v6, v8
	v_add_f32_e32 v8, v2, v3
	v_mov_b32_e32 v9, 0x3e91f4c4
	v_sub_f32_e32 v2, v8, v2
	v_fmac_f32_e32 v9, 0x3e76c4e1, v8
	v_mov_b32_e32 v10, 0x3ecccdef
	v_sub_f32_e32 v2, v3, v2
	v_mul_f32_e32 v3, v6, v8
	v_fmac_f32_e32 v10, v8, v9
	v_fma_f32 v9, v8, v6, -v3
	v_fmac_f32_e32 v9, v8, v7
	v_fmac_f32_e32 v9, v2, v6
	v_add_f32_e32 v11, v3, v9
	v_sub_f32_e32 v3, v11, v3
	v_sub_f32_e32 v9, v9, v3
	v_mul_f32_e32 v3, v8, v10
	v_fma_f32 v8, v8, v10, -v3
	v_fmac_f32_e32 v8, v2, v10
	v_add_f32_e32 v10, v3, v8
	v_sub_f32_e32 v2, v10, v3
	v_sub_f32_e32 v8, v8, v2
	v_cvt_f64_f32_e64 v[2:3], |v5|
	v_add_f32_e32 v12, 0x3f2aaaaa, v10
	v_add_f32_e32 v13, 0xbf2aaaaa, v12
	;; [unrolled: 1-line block ×3, first 2 shown]
	v_frexp_exp_i32_f64_e32 v2, v[2:3]
	v_sub_f32_e32 v10, v10, v13
	v_add_f32_e32 v3, v8, v10
	v_add_f32_e32 v8, v12, v3
	v_sub_f32_e32 v10, v12, v8
	v_add_f32_e32 v3, v3, v10
	v_mul_f32_e32 v10, v11, v8
	v_fma_f32 v12, v11, v8, -v10
	v_subbrev_co_u32_e32 v2, vcc, 0, v2, vcc
	v_cvt_f32_i32_e32 v2, v2
	v_fmac_f32_e32 v12, v11, v3
	s_mov_b32 s0, 0x3f317218
	v_fmac_f32_e32 v12, v9, v8
	v_mul_f32_e32 v3, 0x3f317218, v2
	v_fma_f32 v8, v2, s0, -v3
	v_fmac_f32_e32 v8, 0xb102e308, v2
	v_ldexp_f32 v2, v7, 1
	v_add_f32_e32 v7, v3, v8
	v_sub_f32_e32 v3, v7, v3
	v_ldexp_f32 v6, v6, 1
	v_sub_f32_e32 v3, v8, v3
	v_add_f32_e32 v8, v10, v12
	v_sub_f32_e32 v9, v8, v10
	v_add_f32_e32 v10, v6, v8
	v_sub_f32_e32 v9, v12, v9
	v_sub_f32_e32 v6, v10, v6
	;; [unrolled: 1-line block ×3, first 2 shown]
	v_add_f32_e32 v2, v2, v9
	v_add_f32_e32 v2, v2, v6
	;; [unrolled: 1-line block ×3, first 2 shown]
	v_sub_f32_e32 v8, v6, v10
	v_sub_f32_e32 v2, v2, v8
	v_add_f32_e32 v8, v7, v6
	v_sub_f32_e32 v9, v8, v7
	v_sub_f32_e32 v10, v8, v9
	;; [unrolled: 1-line block ×4, first 2 shown]
	v_add_f32_e32 v6, v6, v7
	v_add_f32_e32 v7, v3, v2
	v_sub_f32_e32 v9, v7, v3
	v_sub_f32_e32 v10, v7, v9
	;; [unrolled: 1-line block ×4, first 2 shown]
	v_add_f32_e32 v2, v2, v3
	v_add_f32_e32 v3, v7, v6
	;; [unrolled: 1-line block ×3, first 2 shown]
	v_sub_f32_e32 v7, v6, v8
	v_sub_f32_e32 v3, v3, v7
	v_add_f32_e32 v2, v2, v3
	v_add_f32_e32 v3, v6, v2
	v_sub_f32_e32 v6, v3, v6
	v_sub_f32_e32 v2, v2, v6
	v_mul_f32_e32 v6, v4, v3
	v_fma_f32 v3, v4, v3, -v6
	v_fmac_f32_e32 v3, v4, v2
	v_add_f32_e32 v2, v6, v3
	v_cmp_class_f32_e64 vcc, v6, s2
	v_sub_f32_e32 v7, v2, v6
	v_cndmask_b32_e32 v2, v2, v6, vcc
	s_mov_b32 s1, 0x42b17218
	v_mov_b32_e32 v6, 0x37000000
	v_cmp_eq_f32_e32 vcc, s1, v2
	v_cndmask_b32_e32 v6, 0, v6, vcc
	v_sub_f32_e32 v3, v3, v7
	v_sub_f32_e32 v7, v2, v6
	s_mov_b32 s3, 0x3fb8aa3b
	v_mul_f32_e32 v8, 0x3fb8aa3b, v7
	v_fma_f32 v9, v7, s3, -v8
	v_rndne_f32_e32 v10, v8
	v_fmac_f32_e32 v9, 0x32a5705f, v7
	v_sub_f32_e32 v8, v8, v10
	v_add_f32_e32 v8, v8, v9
	v_exp_f32_e32 v8, v8
	v_cvt_i32_f32_e32 v9, v10
	s_mov_b32 s0, 0x7f800000
	v_cmp_neq_f32_e64 vcc, |v2|, s0
	s_mov_b32 s0, 0xc2ce8ed0
	v_cndmask_b32_e32 v2, 0, v3, vcc
	v_ldexp_f32 v3, v8, v9
	v_cmp_ngt_f32_e32 vcc, s0, v7
	v_add_f32_e32 v2, v6, v2
	v_cndmask_b32_e32 v3, 0, v3, vcc
	v_mov_b32_e32 v6, 0x7f800000
	v_cmp_nlt_f32_e32 vcc, s1, v7
	v_cndmask_b32_e32 v3, v6, v3, vcc
	v_fma_f32 v2, v3, v2, v3
	v_cmp_class_f32_e64 vcc, v3, s2
	v_cndmask_b32_e32 v2, v2, v3, vcc
	v_trunc_f32_e32 v3, v4
	v_cmp_eq_f32_e32 vcc, v3, v4
	v_mul_f32_e32 v3, 0.5, v4
	v_trunc_f32_e32 v8, v3
	v_cmp_neq_f32_e64 s[0:1], v8, v3
	s_and_b64 s[0:1], vcc, s[0:1]
	v_cndmask_b32_e64 v3, 1.0, v5, s[0:1]
	s_brev_b32 s9, -2
	v_mov_b32_e32 v7, 0x7fc00000
	v_bfi_b32 v2, s9, v2, v3
	v_cndmask_b32_e32 v3, v7, v2, vcc
	v_cmp_gt_f32_e32 vcc, 0, v5
	v_cndmask_b32_e32 v2, v2, v3, vcc
	v_cmp_class_f32_e64 s[10:11], v5, s2
	v_cmp_eq_f32_e32 vcc, 0, v5
	v_cmp_gt_f32_e64 s[2:3], 0, v4
	s_xor_b64 s[2:3], s[2:3], vcc
	v_cndmask_b32_e64 v3, v6, 0, s[2:3]
	v_cndmask_b32_e64 v4, 0, v5, s[0:1]
	v_bfi_b32 v3, s9, v3, v4
	s_or_b64 vcc, vcc, s[10:11]
	v_cndmask_b32_e32 v2, v2, v3, vcc
	v_cmp_o_f32_e32 vcc, v5, v5
	v_cndmask_b32_e32 v33, v7, v2, vcc
.LBB18_2:
	s_load_dwordx16 s[16:31], s[4:5], 0x0
	s_mul_hi_u32 s50, s47, s12
	s_mul_hi_u32 s49, s43, s13
	v_cmp_eq_u32_e64 s[0:1], 0, v1
	v_mbcnt_lo_u32_b32 v32, -1, 0
	s_and_saveexec_b64 s[12:13], s[0:1]
	s_cbranch_execz .LBB18_7
; %bb.3:
	s_load_dwordx4 s[52:55], s[4:5], 0x70
	v_lshlrev_b32_e32 v2, 4, v0
	s_waitcnt lgkmcnt(0)
	s_mul_i32 s2, s33, s54
	s_mul_i32 s9, s52, s6
	;; [unrolled: 1-line block ×3, first 2 shown]
	s_add_i32 s2, s2, s9
	s_add_i32 s2, s2, s3
	s_ashr_i32 s3, s2, 31
	s_add_u32 s2, s16, s2
	s_addc_u32 s3, s17, s3
	global_load_dwordx4 v[9:12], v2, s[2:3]
	v_mbcnt_hi_u32_b32 v2, -1, v32
	v_and_b32_e32 v3, 0x60, v2
	v_xor_b32_e32 v4, 4, v2
	v_add_u32_e32 v6, 32, v3
	v_cmp_lt_i32_e32 vcc, v4, v6
	v_cndmask_b32_e32 v3, v2, v4, vcc
	v_lshlrev_b32_e32 v7, 2, v3
	v_xor_b32_e32 v14, 2, v2
	v_cmp_lt_i32_e32 vcc, v14, v6
	v_cndmask_b32_e32 v14, v2, v14, vcc
	v_lshlrev_b32_e32 v14, 2, v14
	v_xor_b32_e32 v15, 1, v2
	v_cmp_lt_i32_e32 vcc, v15, v6
	v_cndmask_b32_e32 v2, v2, v15, vcc
	v_lshlrev_b32_e32 v2, 2, v2
	s_mov_b32 s9, 0x42fe0000
	s_waitcnt vmcnt(0)
	v_mul_f32_e32 v8, s8, v9
	v_mul_f32_e32 v5, s8, v10
	;; [unrolled: 1-line block ×4, first 2 shown]
	v_max_f32_e64 v10, |v8|, |v5|
	v_max3_f32 v10, v10, |v4|, |v3|
	ds_bpermute_b32 v13, v7, v10
	v_fma_f32 v9, s8, v9, v5
	v_fmac_f32_e32 v9, s8, v11
	v_fmac_f32_e32 v9, s8, v12
	s_waitcnt lgkmcnt(0)
	v_max_f32_e32 v13, v13, v13
	v_max_f32_e32 v10, v10, v13
	ds_bpermute_b32 v13, v14, v10
	s_waitcnt lgkmcnt(0)
	v_max_f32_e32 v6, v13, v13
	v_max_f32_e32 v6, v10, v6
	ds_bpermute_b32 v10, v2, v6
	s_waitcnt lgkmcnt(0)
	v_max_f32_e32 v10, v10, v10
	v_max_f32_e32 v10, v6, v10
	v_div_scale_f32 v6, s[2:3], s9, s9, v10
	v_div_scale_f32 v13, vcc, v10, s9, v10
	v_rcp_f32_e32 v15, v6
	v_fma_f32 v11, -v6, v15, 1.0
	v_fmac_f32_e32 v15, v11, v15
	v_mul_f32_e32 v11, v13, v15
	v_fma_f32 v12, -v6, v11, v13
	v_fmac_f32_e32 v11, v12, v15
	v_fma_f32 v6, -v6, v11, v13
	v_div_fmas_f32 v11, v6, v15, v11
	ds_bpermute_b32 v6, v7, v9
	s_waitcnt lgkmcnt(0)
	v_add_f32_e32 v6, v9, v6
	ds_bpermute_b32 v7, v14, v6
	v_mov_b32_e32 v9, 0
	s_waitcnt lgkmcnt(0)
	v_add_f32_e32 v6, v6, v7
	ds_bpermute_b32 v7, v2, v6
	v_div_fixup_f32 v2, v11, s9, v10
	v_cmp_neq_f32_e32 vcc, 0, v2
	s_and_saveexec_b64 s[16:17], vcc
	s_cbranch_execz .LBB18_5
; %bb.4:
	v_div_scale_f32 v9, s[2:3], v2, v2, v8
	v_div_scale_f32 v12, vcc, v8, v2, v8
	v_div_scale_f32 v10, s[2:3], v2, v2, v5
	v_div_scale_f32 v11, s[2:3], v2, v2, v4
	;; [unrolled: 1-line block ×5, first 2 shown]
	s_brev_b32 s37, -2
	v_rcp_f32_e32 v15, v9
	v_rcp_f32_e32 v17, v10
	v_fma_f32 v19, -v9, v15, 1.0
	v_fmac_f32_e32 v15, v19, v15
	v_mul_f32_e32 v19, v12, v15
	v_fma_f32 v20, -v9, v19, v12
	v_fmac_f32_e32 v19, v20, v15
	v_fma_f32 v9, -v9, v19, v12
	v_div_fmas_f32 v9, v9, v15, v19
	v_div_scale_f32 v12, s[10:11], v3, v2, v3
	v_fma_f32 v15, -v10, v17, 1.0
	v_fmac_f32_e32 v17, v15, v17
	v_mul_f32_e32 v15, v13, v17
	v_fma_f32 v20, -v10, v15, v13
	v_fmac_f32_e32 v15, v20, v17
	v_rcp_f32_e32 v18, v11
	v_fma_f32 v10, -v10, v15, v13
	s_mov_b64 vcc, s[2:3]
	v_div_fmas_f32 v10, v10, v17, v15
	v_fma_f32 v19, -v11, v18, 1.0
	v_fmac_f32_e32 v18, v19, v18
	v_mul_f32_e32 v19, v14, v18
	v_fma_f32 v21, -v11, v19, v14
	v_div_fixup_f32 v8, v9, v2, v8
	v_trunc_f32_e32 v9, v8
	v_sub_f32_e32 v13, v8, v9
	v_cmp_ge_f32_e64 s[2:3], |v13|, 0.5
	v_cndmask_b32_e64 v13, 0, 1.0, s[2:3]
	v_bfi_b32 v8, s37, v13, v8
	v_add_f32_e32 v8, v9, v8
	v_rcp_f32_e32 v9, v16
	v_fmac_f32_e32 v19, v21, v18
	v_fma_f32 v11, -v11, v19, v14
	s_mov_b64 vcc, s[8:9]
	v_fma_f32 v13, -v16, v9, 1.0
	v_fmac_f32_e32 v9, v13, v9
	v_div_fmas_f32 v11, v11, v18, v19
	v_mul_f32_e32 v13, v12, v9
	v_fma_f32 v14, -v16, v13, v12
	v_fmac_f32_e32 v13, v14, v9
	v_fma_f32 v12, -v16, v13, v12
	s_mov_b64 vcc, s[10:11]
	v_div_fmas_f32 v9, v12, v9, v13
	v_div_fixup_f32 v5, v10, v2, v5
	v_trunc_f32_e32 v10, v5
	v_sub_f32_e32 v12, v5, v10
	v_cmp_ge_f32_e64 s[2:3], |v12|, 0.5
	v_cndmask_b32_e64 v12, 0, 1.0, s[2:3]
	v_bfi_b32 v5, s37, v12, v5
	v_add_f32_e32 v5, v10, v5
	v_cvt_i32_f32_e32 v8, v8
	v_cvt_i32_f32_e32 v5, v5
	v_div_fixup_f32 v4, v11, v2, v4
	v_trunc_f32_e32 v10, v4
	v_sub_f32_e32 v11, v4, v10
	v_cmp_ge_f32_e64 s[2:3], |v11|, 0.5
	v_cndmask_b32_e64 v11, 0, 1.0, s[2:3]
	v_bfi_b32 v4, s37, v11, v4
	v_div_fixup_f32 v3, v9, v2, v3
	v_trunc_f32_e32 v9, v3
	v_add_f32_e32 v4, v10, v4
	v_sub_f32_e32 v10, v3, v9
	v_cmp_ge_f32_e64 s[2:3], |v10|, 0.5
	v_cndmask_b32_e64 v10, 0, 1.0, s[2:3]
	v_cvt_i32_f32_e32 v4, v4
	v_bfi_b32 v3, s37, v10, v3
	v_add_f32_e32 v3, v9, v3
	v_cvt_i32_f32_e32 v3, v3
	v_and_b32_e32 v4, 0xff, v4
	v_lshlrev_b32_e32 v4, 16, v4
	v_lshl_or_b32 v3, v3, 24, v4
	v_mov_b32_e32 v4, 8
	v_lshlrev_b32_sdwa v4, v4, v5 dst_sel:DWORD dst_unused:UNUSED_PAD src0_sel:DWORD src1_sel:BYTE_0
	v_and_b32_e32 v5, 0xff, v8
	v_or3_b32 v9, v3, v4, v5
.LBB18_5:
	s_or_b64 exec, exec, s[16:17]
	v_and_b32_e32 v4, 7, v0
	v_lshlrev_b32_e32 v3, 2, v0
	v_cmp_eq_u32_e32 vcc, 0, v4
	ds_write_b32 v3, v9
	s_and_b64 exec, exec, vcc
	s_cbranch_execz .LBB18_7
; %bb.6:
	s_waitcnt lgkmcnt(1)
	v_add_f32_e32 v3, v6, v7
	ds_write_b64 v0, v[2:3] offset:128
.LBB18_7:
	s_or_b64 exec, exec, s[12:13]
	v_and_b32_e32 v13, 3, v0
	v_lshlrev_b32_e32 v10, 2, v13
	v_mov_b32_e32 v137, 0
	s_waitcnt lgkmcnt(0)
	s_barrier
	ds_read2_b32 v[22:23], v10 offset1:4
	ds_read2_b32 v[24:25], v10 offset0:8 offset1:12
	ds_read_b128 v[2:5], v137 offset:128
	ds_read_b128 v[6:9], v137 offset:144
	ds_read2_b32 v[26:27], v10 offset0:16 offset1:20
	ds_read2_b32 v[28:29], v10 offset0:24 offset1:28
	s_ashr_i32 s41, s40, 31
	s_ashr_i32 s8, s36, 31
	;; [unrolled: 1-line block ×3, first 2 shown]
	s_cmp_eq_u64 s[26:27], 0
	s_waitcnt lgkmcnt(0)
	s_barrier
	s_cbranch_scc1 .LBB18_9
; %bb.8:
	s_load_dword s2, s[4:5], 0xd0
	s_mov_b32 s3, 0
	s_waitcnt lgkmcnt(0)
	s_mul_i32 s2, s2, s33
	s_add_i32 s2, s2, s6
	s_lshl_b64 s[2:3], s[2:3], 2
	s_add_u32 s2, s26, s2
	s_addc_u32 s3, s27, s3
	s_load_dword s42, s[2:3], 0x0
.LBB18_9:
	v_lshlrev_b32_e32 v10, 5, v1
	v_add_u32_e32 v34, v10, v0
	s_lshl_b32 s16, s7, 7
	s_mov_b32 s17, 0
	s_waitcnt lgkmcnt(0)
	s_cmp_ge_i32 s16, s42
	v_lshlrev_b32_e32 v36, 2, v0
	v_lshlrev_b32_e32 v35, 1, v34
	s_cbranch_scc1 .LBB18_37
; %bb.10:
	s_load_dwordx4 s[36:39], s[4:5], 0x98
	s_load_dwordx2 s[12:13], s[4:5], 0x8c
	s_load_dwordx2 s[2:3], s[4:5], 0xc8
	s_xor_b32 s8, s41, s8
	s_mul_i32 s49, s49, s14
	s_waitcnt lgkmcnt(0)
	s_mul_hi_u32 s9, s36, s33
	s_mul_i32 s10, s36, s51
	s_add_i32 s44, s9, s10
	s_mul_i32 s9, s50, s46
	s_mul_i32 s11, s37, s33
	s_sub_i32 s9, s47, s9
	s_add_i32 s44, s44, s11
	s_add_i32 s10, s50, 1
	s_sub_i32 s11, s9, s46
	s_cmp_ge_u32 s9, s46
	s_cselect_b32 s10, s10, s50
	s_cselect_b32 s9, s11, s9
	s_add_i32 s11, s10, 1
	s_cmp_ge_u32 s9, s46
	s_cselect_b32 s9, s11, s10
	s_xor_b32 s9, s9, s8
	s_sub_i32 s8, s9, s8
	s_mul_i32 s13, s8, s13
	s_mul_i32 s39, s8, s39
	s_sub_i32 s8, s43, s49
	s_ashr_i32 s46, s13, 31
	s_ashr_i32 s47, s39, 31
	s_sub_i32 s9, s8, s14
	s_cmp_ge_u32 s8, s14
	s_cselect_b32 s8, s9, s8
	s_sub_i32 s9, s8, s14
	s_cmp_ge_u32 s8, s14
	s_cselect_b32 s8, s9, s8
	s_xor_b32 s8, s8, s51
	s_sub_i32 s8, s8, s51
	v_and_b32_e32 v11, 0x7c, v0
	v_mbcnt_hi_u32_b32 v15, -1, v32
	s_ashr_i32 s9, s8, 31
	v_add_u32_e32 v16, v10, v11
	v_and_b32_e32 v11, 0x7c, v15
	s_load_dword s10, s[4:5], 0xd4
	s_load_dwordx2 s[52:53], s[4:5], 0xa8
	s_mul_i32 s9, s2, s9
	s_mul_hi_u32 s11, s2, s8
	v_add_u32_e32 v12, 4, v11
	v_xor_b32_e32 v11, 2, v15
	s_add_i32 s9, s11, s9
	s_mul_i32 s3, s3, s8
	s_mul_i32 s50, s15, s6
	v_cmp_lt_i32_e32 vcc, v11, v12
	v_xor_b32_e32 v14, 1, v15
	s_add_i32 s43, s9, s3
	s_ashr_i32 s56, s50, 31
	v_cndmask_b32_e32 v11, v15, v11, vcc
	v_cmp_lt_i32_e32 vcc, v14, v12
	v_cndmask_b32_e32 v12, v15, v14, vcc
	s_cmp_lg_u64 s[22:23], 0
	v_and_b32_e32 v14, 0x60, v15
	v_mul_lo_u32 v20, v16, s12
	s_mul_i32 s48, s36, s33
	s_mul_i32 s49, s2, s8
	s_cselect_b64 s[26:27], -1, 0
	v_add_u32_e32 v18, 32, v14
	s_waitcnt lgkmcnt(0)
	s_lshl_b32 s36, s10, 7
	v_cmp_eq_u32_e64 s[2:3], 3, v13
	v_cmp_eq_u32_e64 s[14:15], 0, v13
	;; [unrolled: 1-line block ×4, first 2 shown]
	v_xor_b32_e32 v13, 4, v15
	v_cmp_lt_i32_e32 vcc, v13, v18
	v_xor_b32_e32 v14, 8, v15
	v_cndmask_b32_e32 v13, v15, v13, vcc
	v_cmp_lt_i32_e32 vcc, v14, v18
	v_xor_b32_e32 v30, 16, v15
	s_add_u32 s57, s18, s13
	v_and_b32_e32 v17, 12, v36
	v_add_u32_e32 v21, s12, v20
	v_cndmask_b32_e32 v14, v15, v14, vcc
	v_cmp_lt_i32_e32 vcc, v30, v18
	s_addc_u32 s58, s19, s46
	s_lshl_b64 s[54:55], s[16:17], 1
	s_mov_b32 s37, s17
	v_add_u32_e32 v19, s12, v21
	v_cndmask_b32_e32 v15, v15, v30, vcc
	v_mov_b32_e32 v18, s44
	v_add_co_u32_e32 v57, vcc, s48, v17
	s_add_u32 s17, s49, s54
	v_add_u32_e32 v39, s12, v19
	v_addc_co_u32_e32 v58, vcc, 0, v18, vcc
	s_addc_u32 s43, s43, s55
	v_ashrrev_i32_e32 v40, 31, v39
	v_add_co_u32_e32 v17, vcc, v57, v39
	s_add_u32 s22, s22, s50
	v_addc_co_u32_e32 v18, vcc, v58, v40, vcc
	s_addc_u32 s23, s23, s56
	v_mov_b32_e32 v30, s58
	v_add_co_u32_e32 v37, vcc, s57, v17
	s_add_u32 s17, s22, s17
	v_addc_co_u32_e32 v38, vcc, v30, v18, vcc
	v_lshlrev_b32_e32 v16, 1, v16
	s_addc_u32 s22, s23, s43
	v_mov_b32_e32 v17, s22
	v_add_co_u32_e32 v16, vcc, s17, v16
	v_addc_co_u32_e32 v17, vcc, 0, v17, vcc
	s_lshl_b64 s[22:23], s[36:37], 1
	v_add_co_u32_e32 v30, vcc, 6, v16
	s_add_u32 s17, s57, s48
	v_addc_co_u32_e32 v31, vcc, 0, v17, vcc
	s_addc_u32 s37, s58, s44
	v_mov_b32_e32 v16, s37
	v_add_co_u32_e32 v39, vcc, s17, v39
	v_addc_co_u32_e32 v40, vcc, v16, v40, vcc
	v_ashrrev_i32_e32 v48, 31, v19
	v_add_co_u32_e32 v16, vcc, v57, v19
	v_addc_co_u32_e32 v17, vcc, v58, v48, vcc
	v_mov_b32_e32 v18, s58
	v_add_co_u32_e32 v41, vcc, s57, v16
	v_bfe_u32 v16, v0, 3, 27
	v_addc_co_u32_e32 v42, vcc, v18, v17, vcc
	v_mul_hi_u32_u24_e32 v17, 34, v16
	v_mul_u32_u24_e32 v16, 34, v16
	v_mov_b32_e32 v18, s33
	v_mad_u64_u32 v[16:17], s[54:55], s52, v18, v[16:17]
	v_mul_lo_u32 v18, v10, s38
	s_mul_i32 s43, s53, s33
	s_mul_i32 s49, s52, s51
	s_add_i32 s49, s49, s43
	s_add_u32 s43, s20, s39
	v_ashrrev_i32_e32 v45, 31, v18
	v_add_u32_e32 v17, s49, v17
	v_add_co_u32_e32 v43, vcc, v16, v18
	s_addc_u32 s50, s21, s47
	v_addc_co_u32_e32 v44, vcc, v17, v45, vcc
	v_mov_b32_e32 v46, s50
	v_add_co_u32_e32 v43, vcc, s43, v43
	v_addc_co_u32_e32 v44, vcc, v46, v44, vcc
	v_and_b32_e32 v46, 28, v36
	v_add_co_u32_e32 v53, vcc, v16, v46
	v_addc_co_u32_e32 v54, vcc, 0, v17, vcc
	v_add_co_u32_e32 v46, vcc, v53, v18
	v_addc_co_u32_e32 v47, vcc, v54, v45, vcc
	v_mov_b32_e32 v49, s50
	v_add_co_u32_e32 v45, vcc, s43, v46
	v_addc_co_u32_e32 v46, vcc, v49, v47, vcc
	v_mov_b32_e32 v49, s37
	v_add_co_u32_e32 v47, vcc, s17, v19
	v_addc_co_u32_e32 v48, vcc, v49, v48, vcc
	v_ashrrev_i32_e32 v56, 31, v21
	v_add_co_u32_e32 v19, vcc, v57, v21
	v_addc_co_u32_e32 v50, vcc, v58, v56, vcc
	v_mov_b32_e32 v51, s58
	v_add_co_u32_e32 v49, vcc, s57, v19
	v_addc_co_u32_e32 v50, vcc, v51, v50, vcc
	v_mov_b32_e32 v19, s47
	v_add_co_u32_e32 v16, vcc, s39, v16
	v_addc_co_u32_e32 v17, vcc, v17, v19, vcc
	v_add_u32_e32 v59, s38, v18
	v_ashrrev_i32_e32 v55, 31, v59
	v_add_co_u32_e32 v18, vcc, v16, v59
	v_addc_co_u32_e32 v19, vcc, v17, v55, vcc
	v_mov_b32_e32 v52, s21
	v_add_co_u32_e32 v51, vcc, s20, v18
	v_addc_co_u32_e32 v52, vcc, v52, v19, vcc
	v_mov_b32_e32 v19, s47
	v_add_co_u32_e32 v18, vcc, s39, v53
	v_addc_co_u32_e32 v19, vcc, v54, v19, vcc
	v_add_co_u32_e32 v53, vcc, v18, v59
	v_addc_co_u32_e32 v54, vcc, v19, v55, vcc
	v_mov_b32_e32 v55, s21
	v_add_co_u32_e32 v53, vcc, s20, v53
	v_addc_co_u32_e32 v54, vcc, v55, v54, vcc
	v_mov_b32_e32 v60, s37
	;; [unrolled: 3-line block ×3, first 2 shown]
	v_add_co_u32_e32 v57, vcc, s13, v57
	v_addc_co_u32_e32 v21, vcc, v58, v21, vcc
	v_ashrrev_i32_e32 v63, 31, v20
	v_add_co_u32_e32 v57, vcc, v57, v20
	v_addc_co_u32_e32 v21, vcc, v21, v63, vcc
	v_mov_b32_e32 v58, s19
	v_add_co_u32_e32 v57, vcc, s18, v57
	v_addc_co_u32_e32 v58, vcc, v58, v21, vcc
	v_add_u32_e32 v115, s38, v59
	v_ashrrev_i32_e32 v21, 31, v115
	v_add_co_u32_e32 v59, vcc, v16, v115
	v_addc_co_u32_e32 v60, vcc, v17, v21, vcc
	v_mov_b32_e32 v61, s21
	v_add_co_u32_e32 v59, vcc, s20, v59
	v_addc_co_u32_e32 v60, vcc, v61, v60, vcc
	v_add_co_u32_e32 v61, vcc, v18, v115
	s_add_u32 s13, s48, s13
	v_addc_co_u32_e32 v21, vcc, v19, v21, vcc
	s_addc_u32 s17, s44, s46
	v_add_u32_e32 v64, 31, v10
	v_mov_b32_e32 v62, s21
	v_add_co_u32_e32 v61, vcc, s20, v61
	s_add_u32 s13, s18, s13
	v_mul_lo_u32 v65, s38, v64
	v_addc_co_u32_e32 v62, vcc, v62, v21, vcc
	s_addc_u32 s17, s19, s17
	v_mov_b32_e32 v21, s17
	v_add_co_u32_e32 v20, vcc, s13, v20
	v_addc_co_u32_e32 v21, vcc, v21, v63, vcc
	v_ashrrev_i32_e32 v66, 31, v65
	v_add_co_u32_e32 v63, vcc, v18, v65
	v_addc_co_u32_e32 v64, vcc, v19, v66, vcc
	v_mov_b32_e32 v67, s21
	v_add_co_u32_e32 v63, vcc, s20, v63
	v_addc_co_u32_e32 v64, vcc, v67, v64, vcc
	v_add_u32_e32 v68, 30, v10
	v_add_co_u32_e32 v65, vcc, v16, v65
	v_mul_lo_u32 v69, s38, v68
	v_addc_co_u32_e32 v66, vcc, v17, v66, vcc
	v_add_co_u32_e32 v65, vcc, s20, v65
	v_addc_co_u32_e32 v66, vcc, v67, v66, vcc
	v_ashrrev_i32_e32 v70, 31, v69
	v_add_co_u32_e32 v67, vcc, v18, v69
	v_addc_co_u32_e32 v68, vcc, v19, v70, vcc
	v_mov_b32_e32 v71, s21
	v_add_co_u32_e32 v67, vcc, s20, v67
	v_addc_co_u32_e32 v68, vcc, v71, v68, vcc
	v_add_u32_e32 v72, 29, v10
	v_add_co_u32_e32 v69, vcc, v16, v69
	v_mul_lo_u32 v73, s38, v72
	v_addc_co_u32_e32 v70, vcc, v17, v70, vcc
	;; [unrolled: 12-line block ×11, first 2 shown]
	v_add_co_u32_e32 v105, vcc, s20, v105
	v_addc_co_u32_e32 v106, vcc, v107, v106, vcc
	v_ashrrev_i32_e32 v110, 31, v109
	v_add_co_u32_e32 v107, vcc, v18, v109
	v_add_u32_e32 v137, s38, v115
	v_addc_co_u32_e32 v108, vcc, v19, v110, vcc
	v_add_u32_e32 v174, s38, v137
	v_mov_b32_e32 v111, s21
	v_add_co_u32_e32 v107, vcc, s20, v107
	v_add_u32_e32 v170, s38, v174
	v_addc_co_u32_e32 v108, vcc, v111, v108, vcc
	v_add_u32_e32 v112, 19, v10
	v_add_u32_e32 v166, s38, v170
	v_add_co_u32_e32 v109, vcc, v16, v109
	v_mul_lo_u32 v113, s38, v112
	v_add_u32_e32 v162, s38, v166
	v_addc_co_u32_e32 v110, vcc, v17, v110, vcc
	v_add_u32_e32 v158, s38, v162
	v_add_co_u32_e32 v109, vcc, s20, v109
	v_add_u32_e32 v154, s38, v158
	v_addc_co_u32_e32 v110, vcc, v111, v110, vcc
	v_add_u32_e32 v150, s38, v154
	v_ashrrev_i32_e32 v114, 31, v113
	v_add_co_u32_e32 v111, vcc, v18, v113
	v_add_u32_e32 v146, s38, v150
	v_addc_co_u32_e32 v112, vcc, v19, v114, vcc
	v_add_u32_e32 v142, s38, v146
	v_mov_b32_e32 v116, s21
	v_add_co_u32_e32 v111, vcc, s20, v111
	v_add_u32_e32 v138, s38, v142
	v_addc_co_u32_e32 v112, vcc, v116, v112, vcc
	v_add_u32_e32 v133, s38, v138
	v_add_co_u32_e32 v113, vcc, v16, v113
	v_add_u32_e32 v129, s38, v133
	v_addc_co_u32_e32 v114, vcc, v17, v114, vcc
	v_add_u32_e32 v125, s38, v129
	;; [unrolled: 4-line block ×3, first 2 shown]
	v_ashrrev_i32_e32 v118, 31, v117
	v_add_co_u32_e32 v115, vcc, v18, v117
	v_addc_co_u32_e32 v116, vcc, v19, v118, vcc
	v_mov_b32_e32 v119, s21
	v_add_co_u32_e32 v115, vcc, s20, v115
	v_addc_co_u32_e32 v116, vcc, v119, v116, vcc
	v_add_co_u32_e32 v117, vcc, v16, v117
	v_addc_co_u32_e32 v118, vcc, v17, v118, vcc
	v_add_co_u32_e32 v117, vcc, s20, v117
	v_addc_co_u32_e32 v118, vcc, v119, v118, vcc
	v_ashrrev_i32_e32 v122, 31, v121
	v_add_co_u32_e32 v119, vcc, v18, v121
	v_addc_co_u32_e32 v120, vcc, v19, v122, vcc
	v_mov_b32_e32 v123, s21
	v_add_co_u32_e32 v119, vcc, s20, v119
	v_addc_co_u32_e32 v120, vcc, v123, v120, vcc
	v_add_co_u32_e32 v121, vcc, v16, v121
	v_addc_co_u32_e32 v122, vcc, v17, v122, vcc
	v_add_co_u32_e32 v121, vcc, s20, v121
	v_addc_co_u32_e32 v122, vcc, v123, v122, vcc
	;; [unrolled: 10-line block ×15, first 2 shown]
	v_ashrrev_i32_e32 v178, 31, v137
	v_add_co_u32_e32 v18, vcc, v18, v137
	v_addc_co_u32_e32 v19, vcc, v19, v178, vcc
	v_mov_b32_e32 v177, s21
	v_add_co_u32_e32 v176, vcc, s20, v18
	v_addc_co_u32_e32 v177, vcc, v177, v19, vcc
	v_add_co_u32_e32 v16, vcc, v16, v137
	v_addc_co_u32_e32 v17, vcc, v17, v178, vcc
	v_mov_b32_e32 v18, s21
	v_add_co_u32_e32 v178, vcc, s20, v16
	v_addc_co_u32_e32 v179, vcc, v18, v17, vcc
	v_add_co_u32_e32 v186, vcc, 54, v20
	s_mul_i32 s17, s38, s16
	s_mul_i32 s20, s12, s16
	v_lshlrev_b32_e32 v180, 2, v11
	v_lshlrev_b32_e32 v181, 2, v12
	s_mul_i32 s21, s36, s12
	s_mul_i32 s37, s36, s38
	v_lshlrev_b32_e32 v182, 2, v13
	v_lshlrev_b32_e32 v183, 2, v14
	;; [unrolled: 1-line block ×4, first 2 shown]
	v_addc_co_u32_e32 v187, vcc, 0, v21, vcc
	s_mov_b32 s38, 0x3f200000
	s_mov_b32 s39, 0x3fb8aa3b
	;; [unrolled: 1-line block ×4, first 2 shown]
	s_brev_b32 s46, -2
	s_mov_b32 s47, 0x10001
	v_mov_b32_e32 v137, 0
	v_mov_b32_e32 v12, 0xfeffffff
	;; [unrolled: 1-line block ×8, first 2 shown]
                                        ; implicit-def: $vgpr192
.LBB18_11:                              ; =>This Inner Loop Header: Depth=1
	v_add_co_u32_e32 v13, vcc, s20, v57
	v_addc_co_u32_e32 v14, vcc, 0, v58, vcc
	global_load_dword v15, v[13:14], off offset:2
	global_load_dword v16, v[13:14], off offset:20
	;; [unrolled: 1-line block ×4, first 2 shown]
	v_add_co_u32_e32 v13, vcc, s20, v186
	v_addc_co_u32_e32 v14, vcc, 0, v187, vcc
	global_load_ushort v19, v[13:14], off offset:-54
	global_load_ushort v20, v[13:14], off offset:-36
	;; [unrolled: 1-line block ×3, first 2 shown]
	s_nop 0
	global_load_ushort v13, v[13:14], off
	s_waitcnt vmcnt(7)
	v_and_b32_e32 v14, 0xf0f0f0f, v15
	v_lshrrev_b32_e32 v15, 4, v15
	v_dot4_i32_i8 v14, v14, v22, 0
	v_and_b32_e32 v15, 0xf0f0f0f, v15
	s_waitcnt vmcnt(6)
	v_and_b32_e32 v193, 0xf0f0f0f, v16
	v_lshrrev_b32_e32 v16, 4, v16
	v_dot4_i32_i8 v15, v15, v23, 0
	v_cvt_f32_i32_e32 v14, v14
	v_dot4_i32_i8 v193, v193, v24, 0
	v_and_b32_e32 v16, 0xf0f0f0f, v16
	v_cvt_f32_i32_e32 v15, v15
	s_waitcnt vmcnt(5)
	v_and_b32_e32 v194, 0xf0f0f0f, v17
	v_lshrrev_b32_e32 v17, 4, v17
	v_dot4_i32_i8 v16, v16, v25, 0
	v_cvt_f32_i32_e32 v193, v193
	v_dot4_i32_i8 v194, v194, v26, 0
	v_and_b32_e32 v17, 0xf0f0f0f, v17
	v_cvt_f32_i32_e32 v16, v16
	s_waitcnt vmcnt(4)
	v_and_b32_e32 v195, 0xf0f0f0f, v18
	v_lshrrev_b32_e32 v18, 4, v18
	v_dot4_i32_i8 v17, v17, v27, 0
	v_cvt_f32_i32_e32 v194, v194
	v_fma_f32 v14, v2, v14, -v3
	v_dot4_i32_i8 v195, v195, v28, 0
	v_and_b32_e32 v18, 0xf0f0f0f, v18
	v_cvt_f32_i32_e32 v17, v17
	v_fma_f32 v15, v2, v15, -v3
	s_waitcnt vmcnt(3)
	v_fma_mix_f32 v14, v14, v19, 0 op_sel_hi:[0,1,0]
	v_dot4_i32_i8 v18, v18, v29, 0
	v_cvt_f32_i32_e32 v195, v195
	v_fma_f32 v193, v4, v193, -v5
	v_fma_mix_f32 v14, v15, v19, v14 op_sel_hi:[0,1,0]
	v_cvt_f32_i32_e32 v18, v18
	v_fma_f32 v16, v4, v16, -v5
	s_waitcnt vmcnt(2)
	v_fma_mix_f32 v14, v193, v20, v14 op_sel_hi:[0,1,0]
	v_fma_f32 v194, v6, v194, -v7
	v_fma_mix_f32 v14, v16, v20, v14 op_sel_hi:[0,1,0]
	v_fma_f32 v17, v6, v17, -v7
	s_waitcnt vmcnt(1)
	v_fma_mix_f32 v14, v194, v21, v14 op_sel_hi:[0,1,0]
	v_fma_mix_f32 v14, v17, v21, v14 op_sel_hi:[0,1,0]
	v_fma_f32 v15, v8, v195, -v9
	v_fma_f32 v18, v8, v18, -v9
	s_waitcnt vmcnt(0)
	v_fma_mix_f32 v14, v15, v13, v14 op_sel_hi:[0,1,0]
	v_fma_mix_f32 v13, v18, v13, v14 op_sel_hi:[0,1,0]
	ds_bpermute_b32 v14, v180, v13
	s_waitcnt lgkmcnt(0)
	v_add_f32_e32 v13, v13, v14
	ds_bpermute_b32 v14, v181, v13
	s_waitcnt lgkmcnt(0)
	v_add_f32_e32 v13, v13, v14
	v_cmp_nlt_f32_e64 s[12:13], |v13|, s38
                                        ; implicit-def: $vgpr14
	s_and_saveexec_b64 s[18:19], s[12:13]
	s_xor_b64 s[12:13], exec, s[18:19]
	s_cbranch_execz .LBB18_13
; %bb.12:                               ;   in Loop: Header=BB18_11 Depth=1
	v_add_f32_e64 v14, |v13|, |v13|
	v_mul_f32_e32 v15, 0x3fb8aa3b, v14
	v_rndne_f32_e32 v16, v15
	v_sub_f32_e32 v17, v15, v16
	v_fma_f32 v15, v14, s39, -v15
	v_fmac_f32_e32 v15, 0x32a5705f, v14
	v_add_f32_e32 v15, v17, v15
	v_cvt_i32_f32_e32 v16, v16
	v_exp_f32_e32 v15, v15
	v_cmp_ngt_f32_e32 vcc, s43, v14
	v_ldexp_f32 v15, v15, v16
	v_cndmask_b32_e32 v15, 0, v15, vcc
	v_cmp_nlt_f32_e32 vcc, s44, v14
	v_cndmask_b32_e32 v14, v191, v15, vcc
	v_add_f32_e32 v14, 1.0, v14
	v_rcp_f32_e32 v14, v14
	v_fma_f32 v14, v14, -2.0, 1.0
.LBB18_13:                              ;   in Loop: Header=BB18_11 Depth=1
	s_andn2_saveexec_b64 s[12:13], s[12:13]
; %bb.14:                               ;   in Loop: Header=BB18_11 Depth=1
	v_mul_f32_e32 v14, v13, v13
	v_mov_b32_e32 v15, 0x3ca908c9
	v_fmac_f32_e32 v15, 0xbbbac73d, v14
	v_fma_f32 v15, v14, v15, v188
	v_fma_f32 v15, v14, v15, v189
	;; [unrolled: 1-line block ×3, first 2 shown]
	v_mul_f32_e64 v15, |v13|, v15
	v_fma_f32 v14, v14, v15, |v13|
; %bb.15:                               ;   in Loop: Header=BB18_11 Depth=1
	s_or_b64 exec, exec, s[12:13]
	v_bfi_b32 v13, s46, v14, v13
	v_cndmask_b32_e64 v14, 0, 1, s[26:27]
	v_cmp_ne_u32_e64 s[12:13], 1, v14
	s_andn2_b64 vcc, exec, s[26:27]
	v_mul_f32_e32 v13, s45, v13
	s_cbranch_vccnz .LBB18_17
; %bb.16:                               ;   in Loop: Header=BB18_11 Depth=1
	global_load_ushort v14, v[30:31], off offset:-6
	s_waitcnt vmcnt(0)
	v_fma_mix_f32 v13, v33, v14, v13 op_sel_hi:[0,1,0]
.LBB18_17:                              ;   in Loop: Header=BB18_11 Depth=1
	v_add_co_u32_e32 v14, vcc, s20, v49
	v_addc_co_u32_e32 v15, vcc, 0, v50, vcc
	global_load_dword v16, v[14:15], off offset:2
	global_load_dword v17, v[14:15], off offset:20
	;; [unrolled: 1-line block ×4, first 2 shown]
	v_add_co_u32_e32 v14, vcc, s20, v55
	v_addc_co_u32_e32 v15, vcc, 0, v56, vcc
	global_load_ushort v20, v[14:15], off
	global_load_ushort v21, v[14:15], off offset:18
	global_load_ushort v193, v[14:15], off offset:36
	s_nop 0
	global_load_ushort v14, v[14:15], off offset:54
	s_waitcnt vmcnt(7)
	v_and_b32_e32 v15, 0xf0f0f0f, v16
	v_lshrrev_b32_e32 v16, 4, v16
	v_dot4_i32_i8 v15, v15, v22, 0
	v_and_b32_e32 v16, 0xf0f0f0f, v16
	s_waitcnt vmcnt(6)
	v_and_b32_e32 v194, 0xf0f0f0f, v17
	v_lshrrev_b32_e32 v17, 4, v17
	v_dot4_i32_i8 v16, v16, v23, 0
	v_cvt_f32_i32_e32 v15, v15
	v_dot4_i32_i8 v194, v194, v24, 0
	v_and_b32_e32 v17, 0xf0f0f0f, v17
	v_cvt_f32_i32_e32 v16, v16
	s_waitcnt vmcnt(5)
	v_and_b32_e32 v195, 0xf0f0f0f, v18
	v_lshrrev_b32_e32 v18, 4, v18
	v_dot4_i32_i8 v17, v17, v25, 0
	v_cvt_f32_i32_e32 v194, v194
	v_dot4_i32_i8 v195, v195, v26, 0
	v_and_b32_e32 v18, 0xf0f0f0f, v18
	v_cvt_f32_i32_e32 v17, v17
	s_waitcnt vmcnt(4)
	v_and_b32_e32 v196, 0xf0f0f0f, v19
	v_lshrrev_b32_e32 v19, 4, v19
	v_dot4_i32_i8 v18, v18, v27, 0
	v_cvt_f32_i32_e32 v195, v195
	v_fma_f32 v15, v2, v15, -v3
	v_dot4_i32_i8 v196, v196, v28, 0
	v_and_b32_e32 v19, 0xf0f0f0f, v19
	v_cvt_f32_i32_e32 v18, v18
	v_fma_f32 v16, v2, v16, -v3
	s_waitcnt vmcnt(3)
	v_fma_mix_f32 v15, v15, v20, 0 op_sel_hi:[0,1,0]
	v_dot4_i32_i8 v19, v19, v29, 0
	v_cvt_f32_i32_e32 v196, v196
	v_fma_f32 v194, v4, v194, -v5
	v_fma_mix_f32 v15, v16, v20, v15 op_sel_hi:[0,1,0]
	v_cvt_f32_i32_e32 v19, v19
	v_fma_f32 v17, v4, v17, -v5
	s_waitcnt vmcnt(2)
	v_fma_mix_f32 v15, v194, v21, v15 op_sel_hi:[0,1,0]
	v_fma_f32 v195, v6, v195, -v7
	v_fma_mix_f32 v15, v17, v21, v15 op_sel_hi:[0,1,0]
	v_fma_f32 v18, v6, v18, -v7
	s_waitcnt vmcnt(1)
	v_fma_mix_f32 v15, v195, v193, v15 op_sel_hi:[0,1,0]
	v_fma_mix_f32 v15, v18, v193, v15 op_sel_hi:[0,1,0]
	v_fma_f32 v16, v8, v196, -v9
	v_fma_f32 v19, v8, v19, -v9
	s_waitcnt vmcnt(0)
	v_fma_mix_f32 v15, v16, v14, v15 op_sel_hi:[0,1,0]
	v_fma_mix_f32 v14, v19, v14, v15 op_sel_hi:[0,1,0]
	ds_bpermute_b32 v15, v180, v14
	s_waitcnt lgkmcnt(0)
	v_add_f32_e32 v14, v14, v15
	ds_bpermute_b32 v15, v181, v14
	s_waitcnt lgkmcnt(0)
	v_add_f32_e32 v14, v14, v15
	v_cmp_nlt_f32_e64 s[18:19], |v14|, s38
                                        ; implicit-def: $vgpr15
	s_and_saveexec_b64 s[48:49], s[18:19]
	s_xor_b64 s[18:19], exec, s[48:49]
	s_cbranch_execz .LBB18_19
; %bb.18:                               ;   in Loop: Header=BB18_11 Depth=1
	v_add_f32_e64 v15, |v14|, |v14|
	v_mul_f32_e32 v16, 0x3fb8aa3b, v15
	v_rndne_f32_e32 v17, v16
	v_sub_f32_e32 v18, v16, v17
	v_fma_f32 v16, v15, s39, -v16
	v_fmac_f32_e32 v16, 0x32a5705f, v15
	v_add_f32_e32 v16, v18, v16
	v_cvt_i32_f32_e32 v17, v17
	v_exp_f32_e32 v16, v16
	v_cmp_ngt_f32_e32 vcc, s43, v15
	v_ldexp_f32 v16, v16, v17
	v_cndmask_b32_e32 v16, 0, v16, vcc
	v_cmp_nlt_f32_e32 vcc, s44, v15
	v_cndmask_b32_e32 v15, v191, v16, vcc
	v_add_f32_e32 v15, 1.0, v15
	v_rcp_f32_e32 v15, v15
	v_fma_f32 v15, v15, -2.0, 1.0
.LBB18_19:                              ;   in Loop: Header=BB18_11 Depth=1
	s_andn2_saveexec_b64 s[18:19], s[18:19]
; %bb.20:                               ;   in Loop: Header=BB18_11 Depth=1
	v_mul_f32_e32 v15, v14, v14
	v_mov_b32_e32 v16, 0x3ca908c9
	v_fmac_f32_e32 v16, 0xbbbac73d, v15
	v_fma_f32 v16, v15, v16, v188
	v_fma_f32 v16, v15, v16, v189
	;; [unrolled: 1-line block ×3, first 2 shown]
	v_mul_f32_e64 v16, |v14|, v16
	v_fma_f32 v15, v15, v16, |v14|
; %bb.21:                               ;   in Loop: Header=BB18_11 Depth=1
	s_or_b64 exec, exec, s[18:19]
	v_bfi_b32 v14, s46, v15, v14
	s_and_b64 vcc, exec, s[12:13]
	v_mul_f32_e32 v14, s45, v14
	s_cbranch_vccnz .LBB18_23
; %bb.22:                               ;   in Loop: Header=BB18_11 Depth=1
	global_load_ushort v15, v[30:31], off offset:-4
	s_waitcnt vmcnt(0)
	v_fma_mix_f32 v14, v33, v15, v14 op_sel_hi:[0,1,0]
.LBB18_23:                              ;   in Loop: Header=BB18_11 Depth=1
	v_add_co_u32_e32 v15, vcc, s20, v41
	v_addc_co_u32_e32 v16, vcc, 0, v42, vcc
	global_load_dword v17, v[15:16], off offset:2
	global_load_dword v18, v[15:16], off offset:20
	;; [unrolled: 1-line block ×4, first 2 shown]
	v_add_co_u32_e32 v15, vcc, s20, v47
	v_addc_co_u32_e32 v16, vcc, 0, v48, vcc
	global_load_ushort v21, v[15:16], off
	global_load_ushort v193, v[15:16], off offset:18
	global_load_ushort v194, v[15:16], off offset:36
	s_nop 0
	global_load_ushort v15, v[15:16], off offset:54
	s_waitcnt vmcnt(7)
	v_and_b32_e32 v16, 0xf0f0f0f, v17
	v_lshrrev_b32_e32 v17, 4, v17
	v_dot4_i32_i8 v16, v16, v22, 0
	v_and_b32_e32 v17, 0xf0f0f0f, v17
	s_waitcnt vmcnt(6)
	v_and_b32_e32 v195, 0xf0f0f0f, v18
	v_lshrrev_b32_e32 v18, 4, v18
	v_dot4_i32_i8 v17, v17, v23, 0
	v_cvt_f32_i32_e32 v16, v16
	v_dot4_i32_i8 v195, v195, v24, 0
	v_and_b32_e32 v18, 0xf0f0f0f, v18
	v_cvt_f32_i32_e32 v17, v17
	s_waitcnt vmcnt(5)
	v_and_b32_e32 v196, 0xf0f0f0f, v19
	v_lshrrev_b32_e32 v19, 4, v19
	v_dot4_i32_i8 v18, v18, v25, 0
	v_cvt_f32_i32_e32 v195, v195
	v_dot4_i32_i8 v196, v196, v26, 0
	v_and_b32_e32 v19, 0xf0f0f0f, v19
	v_cvt_f32_i32_e32 v18, v18
	s_waitcnt vmcnt(4)
	v_and_b32_e32 v197, 0xf0f0f0f, v20
	v_lshrrev_b32_e32 v20, 4, v20
	v_dot4_i32_i8 v19, v19, v27, 0
	v_cvt_f32_i32_e32 v196, v196
	v_fma_f32 v16, v2, v16, -v3
	v_dot4_i32_i8 v197, v197, v28, 0
	v_and_b32_e32 v20, 0xf0f0f0f, v20
	v_cvt_f32_i32_e32 v19, v19
	v_fma_f32 v17, v2, v17, -v3
	s_waitcnt vmcnt(3)
	v_fma_mix_f32 v16, v16, v21, 0 op_sel_hi:[0,1,0]
	v_dot4_i32_i8 v20, v20, v29, 0
	v_cvt_f32_i32_e32 v197, v197
	v_fma_f32 v195, v4, v195, -v5
	v_fma_mix_f32 v16, v17, v21, v16 op_sel_hi:[0,1,0]
	v_cvt_f32_i32_e32 v20, v20
	v_fma_f32 v18, v4, v18, -v5
	s_waitcnt vmcnt(2)
	v_fma_mix_f32 v16, v195, v193, v16 op_sel_hi:[0,1,0]
	v_fma_f32 v196, v6, v196, -v7
	v_fma_mix_f32 v16, v18, v193, v16 op_sel_hi:[0,1,0]
	v_fma_f32 v19, v6, v19, -v7
	s_waitcnt vmcnt(1)
	v_fma_mix_f32 v16, v196, v194, v16 op_sel_hi:[0,1,0]
	v_fma_mix_f32 v16, v19, v194, v16 op_sel_hi:[0,1,0]
	v_fma_f32 v17, v8, v197, -v9
	v_fma_f32 v20, v8, v20, -v9
	s_waitcnt vmcnt(0)
	v_fma_mix_f32 v16, v17, v15, v16 op_sel_hi:[0,1,0]
	v_fma_mix_f32 v15, v20, v15, v16 op_sel_hi:[0,1,0]
	ds_bpermute_b32 v16, v180, v15
	s_waitcnt lgkmcnt(0)
	v_add_f32_e32 v15, v15, v16
	ds_bpermute_b32 v16, v181, v15
	s_waitcnt lgkmcnt(0)
	v_add_f32_e32 v15, v15, v16
	v_cmp_nlt_f32_e64 s[18:19], |v15|, s38
                                        ; implicit-def: $vgpr16
	s_and_saveexec_b64 s[48:49], s[18:19]
	s_xor_b64 s[18:19], exec, s[48:49]
	s_cbranch_execz .LBB18_25
; %bb.24:                               ;   in Loop: Header=BB18_11 Depth=1
	v_add_f32_e64 v16, |v15|, |v15|
	v_mul_f32_e32 v17, 0x3fb8aa3b, v16
	v_rndne_f32_e32 v18, v17
	v_sub_f32_e32 v19, v17, v18
	v_fma_f32 v17, v16, s39, -v17
	v_fmac_f32_e32 v17, 0x32a5705f, v16
	v_add_f32_e32 v17, v19, v17
	v_cvt_i32_f32_e32 v18, v18
	v_exp_f32_e32 v17, v17
	v_cmp_ngt_f32_e32 vcc, s43, v16
	v_ldexp_f32 v17, v17, v18
	v_cndmask_b32_e32 v17, 0, v17, vcc
	v_cmp_nlt_f32_e32 vcc, s44, v16
	v_cndmask_b32_e32 v16, v191, v17, vcc
	v_add_f32_e32 v16, 1.0, v16
	v_rcp_f32_e32 v16, v16
	v_fma_f32 v16, v16, -2.0, 1.0
.LBB18_25:                              ;   in Loop: Header=BB18_11 Depth=1
	s_andn2_saveexec_b64 s[18:19], s[18:19]
; %bb.26:                               ;   in Loop: Header=BB18_11 Depth=1
	v_mul_f32_e32 v16, v15, v15
	v_mov_b32_e32 v17, 0x3ca908c9
	v_fmac_f32_e32 v17, 0xbbbac73d, v16
	v_fma_f32 v17, v16, v17, v188
	v_fma_f32 v17, v16, v17, v189
	;; [unrolled: 1-line block ×3, first 2 shown]
	v_mul_f32_e64 v17, |v15|, v17
	v_fma_f32 v16, v16, v17, |v15|
; %bb.27:                               ;   in Loop: Header=BB18_11 Depth=1
	s_or_b64 exec, exec, s[18:19]
	v_bfi_b32 v15, s46, v16, v15
	s_and_b64 vcc, exec, s[12:13]
	v_mul_f32_e32 v15, s45, v15
	s_cbranch_vccnz .LBB18_29
; %bb.28:                               ;   in Loop: Header=BB18_11 Depth=1
	global_load_ushort v16, v[30:31], off offset:-2
	s_waitcnt vmcnt(0)
	v_fma_mix_f32 v15, v33, v16, v15 op_sel_hi:[0,1,0]
.LBB18_29:                              ;   in Loop: Header=BB18_11 Depth=1
	v_add_co_u32_e32 v16, vcc, s20, v37
	v_addc_co_u32_e32 v17, vcc, 0, v38, vcc
	global_load_dword v18, v[16:17], off offset:2
	global_load_dword v19, v[16:17], off offset:20
	;; [unrolled: 1-line block ×4, first 2 shown]
	v_add_co_u32_e32 v16, vcc, s20, v39
	v_addc_co_u32_e32 v17, vcc, 0, v40, vcc
	global_load_ushort v193, v[16:17], off
	global_load_ushort v194, v[16:17], off offset:18
	global_load_ushort v195, v[16:17], off offset:36
	s_nop 0
	global_load_ushort v16, v[16:17], off offset:54
	s_waitcnt vmcnt(7)
	v_and_b32_e32 v17, 0xf0f0f0f, v18
	v_lshrrev_b32_e32 v18, 4, v18
	v_dot4_i32_i8 v17, v17, v22, 0
	v_and_b32_e32 v18, 0xf0f0f0f, v18
	s_waitcnt vmcnt(6)
	v_and_b32_e32 v196, 0xf0f0f0f, v19
	v_lshrrev_b32_e32 v19, 4, v19
	v_dot4_i32_i8 v18, v18, v23, 0
	v_cvt_f32_i32_e32 v17, v17
	v_dot4_i32_i8 v196, v196, v24, 0
	v_and_b32_e32 v19, 0xf0f0f0f, v19
	v_cvt_f32_i32_e32 v18, v18
	s_waitcnt vmcnt(5)
	v_and_b32_e32 v197, 0xf0f0f0f, v20
	v_lshrrev_b32_e32 v20, 4, v20
	v_dot4_i32_i8 v19, v19, v25, 0
	v_cvt_f32_i32_e32 v196, v196
	v_dot4_i32_i8 v197, v197, v26, 0
	v_and_b32_e32 v20, 0xf0f0f0f, v20
	v_cvt_f32_i32_e32 v19, v19
	s_waitcnt vmcnt(4)
	v_and_b32_e32 v198, 0xf0f0f0f, v21
	v_lshrrev_b32_e32 v21, 4, v21
	v_dot4_i32_i8 v20, v20, v27, 0
	v_cvt_f32_i32_e32 v197, v197
	v_fma_f32 v17, v2, v17, -v3
	v_dot4_i32_i8 v198, v198, v28, 0
	v_and_b32_e32 v21, 0xf0f0f0f, v21
	v_cvt_f32_i32_e32 v20, v20
	v_fma_f32 v18, v2, v18, -v3
	s_waitcnt vmcnt(3)
	v_fma_mix_f32 v17, v17, v193, 0 op_sel_hi:[0,1,0]
	v_dot4_i32_i8 v21, v21, v29, 0
	v_cvt_f32_i32_e32 v198, v198
	v_fma_f32 v196, v4, v196, -v5
	v_fma_mix_f32 v17, v18, v193, v17 op_sel_hi:[0,1,0]
	v_cvt_f32_i32_e32 v21, v21
	v_fma_f32 v19, v4, v19, -v5
	s_waitcnt vmcnt(2)
	v_fma_mix_f32 v17, v196, v194, v17 op_sel_hi:[0,1,0]
	v_fma_f32 v197, v6, v197, -v7
	v_fma_mix_f32 v17, v19, v194, v17 op_sel_hi:[0,1,0]
	v_fma_f32 v20, v6, v20, -v7
	s_waitcnt vmcnt(1)
	v_fma_mix_f32 v17, v197, v195, v17 op_sel_hi:[0,1,0]
	v_fma_mix_f32 v17, v20, v195, v17 op_sel_hi:[0,1,0]
	v_fma_f32 v18, v8, v198, -v9
	v_fma_f32 v21, v8, v21, -v9
	s_waitcnt vmcnt(0)
	v_fma_mix_f32 v17, v18, v16, v17 op_sel_hi:[0,1,0]
	v_fma_mix_f32 v16, v21, v16, v17 op_sel_hi:[0,1,0]
	ds_bpermute_b32 v17, v180, v16
	s_waitcnt lgkmcnt(0)
	v_add_f32_e32 v16, v16, v17
	ds_bpermute_b32 v17, v181, v16
	s_waitcnt lgkmcnt(0)
	v_add_f32_e32 v16, v16, v17
	v_cmp_nlt_f32_e64 s[18:19], |v16|, s38
                                        ; implicit-def: $vgpr17
	s_and_saveexec_b64 s[48:49], s[18:19]
	s_xor_b64 s[18:19], exec, s[48:49]
	s_cbranch_execz .LBB18_31
; %bb.30:                               ;   in Loop: Header=BB18_11 Depth=1
	v_add_f32_e64 v17, |v16|, |v16|
	v_mul_f32_e32 v18, 0x3fb8aa3b, v17
	v_rndne_f32_e32 v19, v18
	v_sub_f32_e32 v20, v18, v19
	v_fma_f32 v18, v17, s39, -v18
	v_fmac_f32_e32 v18, 0x32a5705f, v17
	v_add_f32_e32 v18, v20, v18
	v_cvt_i32_f32_e32 v19, v19
	v_exp_f32_e32 v18, v18
	v_cmp_ngt_f32_e32 vcc, s43, v17
	v_ldexp_f32 v18, v18, v19
	v_cndmask_b32_e32 v18, 0, v18, vcc
	v_cmp_nlt_f32_e32 vcc, s44, v17
	v_cndmask_b32_e32 v17, v191, v18, vcc
	v_add_f32_e32 v17, 1.0, v17
	v_rcp_f32_e32 v17, v17
	v_fma_f32 v17, v17, -2.0, 1.0
.LBB18_31:                              ;   in Loop: Header=BB18_11 Depth=1
	s_andn2_saveexec_b64 s[18:19], s[18:19]
; %bb.32:                               ;   in Loop: Header=BB18_11 Depth=1
	v_mul_f32_e32 v17, v16, v16
	v_mov_b32_e32 v18, 0x3ca908c9
	v_fmac_f32_e32 v18, 0xbbbac73d, v17
	v_fma_f32 v18, v17, v18, v188
	v_fma_f32 v18, v17, v18, v189
	v_fma_f32 v18, v17, v18, v190
	v_mul_f32_e64 v18, |v16|, v18
	v_fma_f32 v17, v17, v18, |v16|
; %bb.33:                               ;   in Loop: Header=BB18_11 Depth=1
	s_or_b64 exec, exec, s[18:19]
	v_bfi_b32 v16, s46, v17, v16
	s_and_b64 vcc, exec, s[12:13]
	v_mul_f32_e32 v16, s45, v16
	s_cbranch_vccnz .LBB18_35
; %bb.34:                               ;   in Loop: Header=BB18_11 Depth=1
	global_load_ushort v17, v[30:31], off
	s_waitcnt vmcnt(0)
	v_fma_mix_f32 v16, v33, v17, v16 op_sel_hi:[0,1,0]
.LBB18_35:                              ;   in Loop: Header=BB18_11 Depth=1
	v_add_f32_e32 v17, 0x40051340, v13
	v_add_f32_e32 v18, 0x40051340, v14
	v_max3_f32 v17, v12, v17, v18
	v_add_f32_e32 v18, 0x40051340, v15
	v_add_f32_e32 v19, 0x40051340, v16
	v_max3_f32 v17, v17, v18, v19
	ds_bpermute_b32 v18, v182, v17
	v_cndmask_b32_e64 v13, v192, v13, s[14:15]
	v_cndmask_b32_e64 v13, v13, v14, s[8:9]
	s_add_i32 s16, s16, s36
	s_cmp_ge_i32 s16, s42
	s_waitcnt lgkmcnt(0)
	v_max_f32_e32 v18, v18, v18
	v_max_f32_e32 v19, v17, v18
	ds_bpermute_b32 v20, v183, v19
	v_add_co_u32_e32 v17, vcc, s17, v43
	v_addc_co_u32_e32 v18, vcc, 0, v44, vcc
	s_waitcnt lgkmcnt(0)
	v_max_f32_e32 v20, v20, v20
	v_max_f32_e32 v21, v19, v20
	v_add_co_u32_e32 v19, vcc, s17, v45
	v_addc_co_u32_e32 v20, vcc, 0, v46, vcc
	global_load_ushort v202, v[17:18], off
	global_load_dword v203, v[19:20], off offset:2
	ds_bpermute_b32 v17, v184, v21
	v_cndmask_b32_e64 v18, v13, v15, s[10:11]
	s_waitcnt lgkmcnt(0)
	v_max_f32_e32 v13, v17, v17
	v_max_f32_e32 v193, v21, v13
	v_sub_f32_e32 v17, v12, v193
	v_mul_f32_e32 v12, 0x3fb8aa3b, v17
	v_fma_f32 v13, v17, s39, -v12
	v_rndne_f32_e32 v14, v12
	v_fmac_f32_e32 v13, 0x32a5705f, v17
	v_sub_f32_e32 v12, v12, v14
	v_add_f32_e32 v12, v12, v13
	v_exp_f32_e32 v19, v12
	v_add_co_u32_e32 v12, vcc, s17, v51
	v_addc_co_u32_e32 v13, vcc, 0, v52, vcc
	v_cvt_i32_f32_e32 v20, v14
	v_add_co_u32_e32 v14, vcc, s17, v53
	v_addc_co_u32_e32 v15, vcc, 0, v54, vcc
	global_load_ushort v204, v[12:13], off
	global_load_dword v205, v[14:15], off offset:2
	v_cndmask_b32_e64 v12, v18, v16, s[2:3]
	v_sub_f32_e32 v16, v12, v193
	v_mul_f32_e32 v12, 0x3fb8aa3b, v16
	v_fma_f32 v14, v16, s39, -v12
	v_rndne_f32_e32 v15, v12
	v_fmac_f32_e32 v14, 0x32a5705f, v16
	v_sub_f32_e32 v12, v12, v15
	v_add_f32_e32 v12, v12, v14
	v_exp_f32_e32 v12, v12
	v_cvt_i32_f32_e32 v14, v15
	v_ldexp_f32 v13, v19, v20
	v_cmp_ngt_f32_e32 vcc, s43, v17
	v_cndmask_b32_e32 v13, 0, v13, vcc
	v_cmp_nlt_f32_e32 vcc, s44, v17
	v_cndmask_b32_e32 v17, v191, v13, vcc
	v_ldexp_f32 v18, v12, v14
	v_add_co_u32_e32 v12, vcc, s17, v59
	v_addc_co_u32_e32 v13, vcc, 0, v60, vcc
	v_add_co_u32_e32 v14, vcc, s17, v61
	v_addc_co_u32_e32 v15, vcc, 0, v62, vcc
	global_load_ushort v206, v[12:13], off
	global_load_dword v207, v[14:15], off offset:2
	v_cmp_ngt_f32_e32 vcc, s43, v16
	v_cndmask_b32_e32 v12, 0, v18, vcc
	v_cmp_nlt_f32_e32 vcc, s44, v16
	v_cndmask_b32_e32 v192, v191, v12, vcc
	v_cvt_f16_f32_e32 v13, v17
	v_cvt_f16_f32_e32 v12, v192
	v_add_co_u32_e32 v198, vcc, s17, v178
	v_addc_co_u32_e32 v199, vcc, 0, v179, vcc
	v_mul_u32_u24_e32 v13, 0x10001, v13
	ds_write_b16 v35, v12
	v_add_co_u32_e32 v200, vcc, s17, v176
	v_fma_f32 v137, v137, v17, v192
	v_pk_mul_f16 v208, v11, v13
	ds_read_b128 v[194:197], v185
	v_pk_mul_f16 v209, v10, v13
	ds_read_b128 v[18:21], v185 offset:16
	ds_read_b128 v[14:17], v185 offset:32
	;; [unrolled: 1-line block ×3, first 2 shown]
	v_addc_co_u32_e32 v201, vcc, 0, v177, vcc
	global_load_ushort v211, v[198:199], off
	global_load_dword v212, v[200:201], off offset:2
	s_waitcnt lgkmcnt(3)
	v_mul_u32_u24_sdwa v210, v194, s47 dst_sel:DWORD dst_unused:UNUSED_PAD src0_sel:WORD_0 src1_sel:DWORD
	v_mul_u32_u24_sdwa v194, v194, s47 dst_sel:DWORD dst_unused:UNUSED_PAD src0_sel:WORD_1 src1_sel:DWORD
	s_waitcnt vmcnt(7)
	v_mul_u32_u24_e32 v198, 0x10001, v202
	s_waitcnt vmcnt(6)
	v_pk_lshrrev_b16 v199, 8, v203 op_sel:[1,0] op_sel_hi:[0,0]
	v_lshrrev_b32_e32 v200, 16, v199
	v_cvt_f16_i16_sdwa v199, sext(v199) dst_sel:DWORD dst_unused:UNUSED_PAD src0_sel:BYTE_0
	v_cvt_f16_i16_sdwa v200, sext(v200) dst_sel:DWORD dst_unused:UNUSED_PAD src0_sel:BYTE_0
	v_pack_b32_f16 v199, v199, v200
	v_pk_lshrrev_b16 v200, 8, v203 op_sel:[1,1] op_sel_hi:[0,1]
	v_lshrrev_b32_e32 v201, 16, v200
	v_cvt_f16_i16_sdwa v200, sext(v200) dst_sel:DWORD dst_unused:UNUSED_PAD src0_sel:BYTE_0
	v_cvt_f16_i16_sdwa v201, sext(v201) dst_sel:DWORD dst_unused:UNUSED_PAD src0_sel:BYTE_0
	v_pack_b32_f16 v200, v200, v201
	v_pk_mul_f16 v199, v199, v198
	v_pk_mul_f16 v198, v200, v198
	v_pk_fma_f16 v203, v198, v210, v209
	v_add_co_u32_e32 v198, vcc, s17, v174
	v_pk_fma_f16 v202, v199, v210, v208
	v_addc_co_u32_e32 v199, vcc, 0, v175, vcc
	v_add_co_u32_e32 v200, vcc, s17, v172
	v_addc_co_u32_e32 v201, vcc, 0, v173, vcc
	global_load_ushort v208, v[198:199], off
	global_load_dword v209, v[200:201], off offset:2
	s_waitcnt vmcnt(7)
	v_mul_u32_u24_e32 v198, 0x10001, v204
	s_waitcnt vmcnt(6)
	v_pk_lshrrev_b16 v199, 8, v205 op_sel:[1,0] op_sel_hi:[0,0]
	v_lshrrev_b32_e32 v200, 16, v199
	v_cvt_f16_i16_sdwa v199, sext(v199) dst_sel:DWORD dst_unused:UNUSED_PAD src0_sel:BYTE_0
	v_cvt_f16_i16_sdwa v200, sext(v200) dst_sel:DWORD dst_unused:UNUSED_PAD src0_sel:BYTE_0
	v_pack_b32_f16 v199, v199, v200
	v_pk_lshrrev_b16 v200, 8, v205 op_sel:[1,1] op_sel_hi:[0,1]
	v_lshrrev_b32_e32 v201, 16, v200
	v_cvt_f16_i16_sdwa v200, sext(v200) dst_sel:DWORD dst_unused:UNUSED_PAD src0_sel:BYTE_0
	v_cvt_f16_i16_sdwa v201, sext(v201) dst_sel:DWORD dst_unused:UNUSED_PAD src0_sel:BYTE_0
	v_pack_b32_f16 v200, v200, v201
	v_pk_mul_f16 v199, v199, v198
	v_pk_mul_f16 v198, v200, v198
	v_pk_fma_f16 v202, v199, v194, v202
	v_pk_fma_f16 v194, v198, v194, v203
	v_add_co_u32_e32 v198, vcc, s17, v170
	v_addc_co_u32_e32 v199, vcc, 0, v171, vcc
	v_add_co_u32_e32 v200, vcc, s17, v168
	v_addc_co_u32_e32 v201, vcc, 0, v169, vcc
	global_load_ushort v204, v[198:199], off
	s_nop 0
	global_load_dword v200, v[200:201], off offset:2
	v_mul_u32_u24_sdwa v203, v195, s47 dst_sel:DWORD dst_unused:UNUSED_PAD src0_sel:WORD_0 src1_sel:DWORD
	s_waitcnt vmcnt(7)
	v_mul_u32_u24_e32 v198, 0x10001, v206
	s_waitcnt vmcnt(6)
	v_pk_lshrrev_b16 v199, 8, v207 op_sel:[1,0] op_sel_hi:[0,0]
	v_lshrrev_b32_e32 v201, 16, v199
	v_cvt_f16_i16_sdwa v199, sext(v199) dst_sel:DWORD dst_unused:UNUSED_PAD src0_sel:BYTE_0
	v_cvt_f16_i16_sdwa v201, sext(v201) dst_sel:DWORD dst_unused:UNUSED_PAD src0_sel:BYTE_0
	v_pack_b32_f16 v199, v199, v201
	v_pk_lshrrev_b16 v201, 8, v207 op_sel:[1,1] op_sel_hi:[0,1]
	v_lshrrev_b32_e32 v205, 16, v201
	v_cvt_f16_i16_sdwa v201, sext(v201) dst_sel:DWORD dst_unused:UNUSED_PAD src0_sel:BYTE_0
	v_cvt_f16_i16_sdwa v205, sext(v205) dst_sel:DWORD dst_unused:UNUSED_PAD src0_sel:BYTE_0
	v_pack_b32_f16 v201, v201, v205
	v_pk_mul_f16 v199, v199, v198
	v_pk_mul_f16 v198, v201, v198
	v_pk_fma_f16 v201, v199, v203, v202
	v_pk_fma_f16 v202, v198, v203, v194
	v_add_co_u32_e32 v194, vcc, s17, v166
	v_mul_u32_u24_sdwa v203, v195, s47 dst_sel:DWORD dst_unused:UNUSED_PAD src0_sel:WORD_1 src1_sel:DWORD
	v_addc_co_u32_e32 v195, vcc, 0, v167, vcc
	v_add_co_u32_e32 v198, vcc, s17, v164
	v_addc_co_u32_e32 v199, vcc, 0, v165, vcc
	global_load_ushort v205, v[194:195], off
	global_load_dword v206, v[198:199], off offset:2
	s_waitcnt vmcnt(6)
	v_pk_lshrrev_b16 v195, 8, v212 op_sel:[1,0] op_sel_hi:[0,0]
	v_lshrrev_b32_e32 v198, 16, v195
	v_cvt_f16_i16_sdwa v195, sext(v195) dst_sel:DWORD dst_unused:UNUSED_PAD src0_sel:BYTE_0
	v_cvt_f16_i16_sdwa v198, sext(v198) dst_sel:DWORD dst_unused:UNUSED_PAD src0_sel:BYTE_0
	v_pack_b32_f16 v195, v195, v198
	v_pk_lshrrev_b16 v198, 8, v212 op_sel:[1,1] op_sel_hi:[0,1]
	v_lshrrev_b32_e32 v199, 16, v198
	v_cvt_f16_i16_sdwa v198, sext(v198) dst_sel:DWORD dst_unused:UNUSED_PAD src0_sel:BYTE_0
	v_cvt_f16_i16_sdwa v199, sext(v199) dst_sel:DWORD dst_unused:UNUSED_PAD src0_sel:BYTE_0
	v_mul_u32_u24_e32 v194, 0x10001, v211
	v_pack_b32_f16 v198, v198, v199
	v_pk_mul_f16 v195, v195, v194
	v_pk_mul_f16 v194, v198, v194
	v_pk_fma_f16 v202, v194, v203, v202
	v_add_co_u32_e32 v194, vcc, s17, v162
	v_pk_fma_f16 v201, v195, v203, v201
	v_addc_co_u32_e32 v195, vcc, 0, v163, vcc
	v_add_co_u32_e32 v198, vcc, s17, v160
	v_addc_co_u32_e32 v199, vcc, 0, v161, vcc
	global_load_ushort v207, v[194:195], off
	global_load_dword v210, v[198:199], off offset:2
	v_mul_u32_u24_sdwa v203, v196, s47 dst_sel:DWORD dst_unused:UNUSED_PAD src0_sel:WORD_0 src1_sel:DWORD
	v_mul_u32_u24_sdwa v196, v196, s47 dst_sel:DWORD dst_unused:UNUSED_PAD src0_sel:WORD_1 src1_sel:DWORD
	s_waitcnt vmcnt(7)
	v_mul_u32_u24_e32 v194, 0x10001, v208
	s_waitcnt vmcnt(6)
	v_pk_lshrrev_b16 v195, 8, v209 op_sel:[1,0] op_sel_hi:[0,0]
	v_lshrrev_b32_e32 v198, 16, v195
	v_cvt_f16_i16_sdwa v195, sext(v195) dst_sel:DWORD dst_unused:UNUSED_PAD src0_sel:BYTE_0
	v_cvt_f16_i16_sdwa v198, sext(v198) dst_sel:DWORD dst_unused:UNUSED_PAD src0_sel:BYTE_0
	v_pack_b32_f16 v195, v195, v198
	v_pk_lshrrev_b16 v198, 8, v209 op_sel:[1,1] op_sel_hi:[0,1]
	v_lshrrev_b32_e32 v199, 16, v198
	v_cvt_f16_i16_sdwa v198, sext(v198) dst_sel:DWORD dst_unused:UNUSED_PAD src0_sel:BYTE_0
	v_cvt_f16_i16_sdwa v199, sext(v199) dst_sel:DWORD dst_unused:UNUSED_PAD src0_sel:BYTE_0
	v_pack_b32_f16 v198, v198, v199
	v_pk_mul_f16 v195, v195, v194
	v_pk_mul_f16 v194, v198, v194
	v_pk_fma_f16 v202, v194, v203, v202
	v_add_co_u32_e32 v194, vcc, s17, v158
	v_pk_fma_f16 v201, v195, v203, v201
	v_addc_co_u32_e32 v195, vcc, 0, v159, vcc
	v_add_co_u32_e32 v198, vcc, s17, v156
	v_addc_co_u32_e32 v199, vcc, 0, v157, vcc
	global_load_ushort v203, v[194:195], off
	global_load_dword v208, v[198:199], off offset:2
	s_waitcnt vmcnt(7)
	v_mul_u32_u24_e32 v194, 0x10001, v204
	s_waitcnt vmcnt(6)
	v_pk_lshrrev_b16 v195, 8, v200 op_sel:[1,0] op_sel_hi:[0,0]
	v_lshrrev_b32_e32 v198, 16, v195
	v_cvt_f16_i16_sdwa v195, sext(v195) dst_sel:DWORD dst_unused:UNUSED_PAD src0_sel:BYTE_0
	v_cvt_f16_i16_sdwa v198, sext(v198) dst_sel:DWORD dst_unused:UNUSED_PAD src0_sel:BYTE_0
	v_pack_b32_f16 v195, v195, v198
	v_pk_lshrrev_b16 v198, 8, v200 op_sel:[1,1] op_sel_hi:[0,1]
	v_lshrrev_b32_e32 v199, 16, v198
	v_cvt_f16_i16_sdwa v198, sext(v198) dst_sel:DWORD dst_unused:UNUSED_PAD src0_sel:BYTE_0
	v_cvt_f16_i16_sdwa v199, sext(v199) dst_sel:DWORD dst_unused:UNUSED_PAD src0_sel:BYTE_0
	v_pack_b32_f16 v198, v198, v199
	v_pk_mul_f16 v195, v195, v194
	v_pk_mul_f16 v194, v198, v194
	v_pk_fma_f16 v200, v195, v196, v201
	v_pk_fma_f16 v196, v194, v196, v202
	v_add_co_u32_e32 v194, vcc, s17, v154
	v_addc_co_u32_e32 v195, vcc, 0, v155, vcc
	v_add_co_u32_e32 v198, vcc, s17, v152
	v_addc_co_u32_e32 v199, vcc, 0, v153, vcc
	global_load_ushort v202, v[194:195], off
	s_nop 0
	global_load_dword v198, v[198:199], off offset:2
	v_mul_u32_u24_sdwa v201, v197, s47 dst_sel:DWORD dst_unused:UNUSED_PAD src0_sel:WORD_0 src1_sel:DWORD
	s_waitcnt vmcnt(7)
	v_mul_u32_u24_e32 v194, 0x10001, v205
	s_waitcnt vmcnt(6)
	v_pk_lshrrev_b16 v195, 8, v206 op_sel:[1,0] op_sel_hi:[0,0]
	v_lshrrev_b32_e32 v199, 16, v195
	v_cvt_f16_i16_sdwa v195, sext(v195) dst_sel:DWORD dst_unused:UNUSED_PAD src0_sel:BYTE_0
	v_cvt_f16_i16_sdwa v199, sext(v199) dst_sel:DWORD dst_unused:UNUSED_PAD src0_sel:BYTE_0
	v_pack_b32_f16 v195, v195, v199
	v_pk_lshrrev_b16 v199, 8, v206 op_sel:[1,1] op_sel_hi:[0,1]
	v_lshrrev_b32_e32 v204, 16, v199
	v_cvt_f16_i16_sdwa v199, sext(v199) dst_sel:DWORD dst_unused:UNUSED_PAD src0_sel:BYTE_0
	v_cvt_f16_i16_sdwa v204, sext(v204) dst_sel:DWORD dst_unused:UNUSED_PAD src0_sel:BYTE_0
	v_pack_b32_f16 v199, v199, v204
	v_pk_mul_f16 v195, v195, v194
	v_pk_mul_f16 v194, v199, v194
	v_pk_fma_f16 v199, v195, v201, v200
	v_pk_fma_f16 v200, v194, v201, v196
	v_add_co_u32_e32 v194, vcc, s17, v150
	v_addc_co_u32_e32 v195, vcc, 0, v151, vcc
	v_add_co_u32_e32 v196, vcc, s17, v148
	v_mul_u32_u24_sdwa v201, v197, s47 dst_sel:DWORD dst_unused:UNUSED_PAD src0_sel:WORD_1 src1_sel:DWORD
	v_addc_co_u32_e32 v197, vcc, 0, v149, vcc
	global_load_ushort v204, v[194:195], off
	global_load_dword v205, v[196:197], off offset:2
	s_waitcnt vmcnt(6)
	v_pk_lshrrev_b16 v195, 8, v210 op_sel:[1,0] op_sel_hi:[0,0]
	v_lshrrev_b32_e32 v196, 16, v195
	v_cvt_f16_i16_sdwa v195, sext(v195) dst_sel:DWORD dst_unused:UNUSED_PAD src0_sel:BYTE_0
	v_cvt_f16_i16_sdwa v196, sext(v196) dst_sel:DWORD dst_unused:UNUSED_PAD src0_sel:BYTE_0
	v_pack_b32_f16 v195, v195, v196
	v_pk_lshrrev_b16 v196, 8, v210 op_sel:[1,1] op_sel_hi:[0,1]
	v_lshrrev_b32_e32 v197, 16, v196
	v_cvt_f16_i16_sdwa v196, sext(v196) dst_sel:DWORD dst_unused:UNUSED_PAD src0_sel:BYTE_0
	v_cvt_f16_i16_sdwa v197, sext(v197) dst_sel:DWORD dst_unused:UNUSED_PAD src0_sel:BYTE_0
	v_mul_u32_u24_e32 v194, 0x10001, v207
	v_pack_b32_f16 v196, v196, v197
	v_pk_mul_f16 v195, v195, v194
	v_pk_mul_f16 v194, v196, v194
	v_pk_fma_f16 v200, v194, v201, v200
	v_add_co_u32_e32 v194, vcc, s17, v146
	v_pk_fma_f16 v199, v195, v201, v199
	v_addc_co_u32_e32 v195, vcc, 0, v147, vcc
	v_add_co_u32_e32 v196, vcc, s17, v144
	v_addc_co_u32_e32 v197, vcc, 0, v145, vcc
	global_load_ushort v206, v[194:195], off
	global_load_dword v207, v[196:197], off offset:2
	s_waitcnt lgkmcnt(2)
	v_mul_u32_u24_sdwa v201, v18, s47 dst_sel:DWORD dst_unused:UNUSED_PAD src0_sel:WORD_0 src1_sel:DWORD
	v_mul_u32_u24_sdwa v18, v18, s47 dst_sel:DWORD dst_unused:UNUSED_PAD src0_sel:WORD_1 src1_sel:DWORD
	s_waitcnt vmcnt(7)
	v_mul_u32_u24_e32 v194, 0x10001, v203
	s_waitcnt vmcnt(6)
	v_pk_lshrrev_b16 v195, 8, v208 op_sel:[1,0] op_sel_hi:[0,0]
	v_lshrrev_b32_e32 v196, 16, v195
	v_cvt_f16_i16_sdwa v195, sext(v195) dst_sel:DWORD dst_unused:UNUSED_PAD src0_sel:BYTE_0
	v_cvt_f16_i16_sdwa v196, sext(v196) dst_sel:DWORD dst_unused:UNUSED_PAD src0_sel:BYTE_0
	v_pack_b32_f16 v195, v195, v196
	v_pk_lshrrev_b16 v196, 8, v208 op_sel:[1,1] op_sel_hi:[0,1]
	v_lshrrev_b32_e32 v197, 16, v196
	v_cvt_f16_i16_sdwa v196, sext(v196) dst_sel:DWORD dst_unused:UNUSED_PAD src0_sel:BYTE_0
	v_cvt_f16_i16_sdwa v197, sext(v197) dst_sel:DWORD dst_unused:UNUSED_PAD src0_sel:BYTE_0
	v_pack_b32_f16 v196, v196, v197
	v_pk_mul_f16 v195, v195, v194
	v_pk_mul_f16 v194, v196, v194
	v_pk_fma_f16 v200, v194, v201, v200
	v_add_co_u32_e32 v194, vcc, s17, v142
	v_pk_fma_f16 v199, v195, v201, v199
	v_addc_co_u32_e32 v195, vcc, 0, v143, vcc
	v_add_co_u32_e32 v196, vcc, s17, v140
	v_addc_co_u32_e32 v197, vcc, 0, v141, vcc
	global_load_ushort v201, v[194:195], off
	global_load_dword v203, v[196:197], off offset:2
	s_waitcnt vmcnt(7)
	v_mul_u32_u24_e32 v194, 0x10001, v202
	s_waitcnt vmcnt(6)
	v_pk_lshrrev_b16 v195, 8, v198 op_sel:[1,0] op_sel_hi:[0,0]
	v_lshrrev_b32_e32 v196, 16, v195
	v_cvt_f16_i16_sdwa v195, sext(v195) dst_sel:DWORD dst_unused:UNUSED_PAD src0_sel:BYTE_0
	v_cvt_f16_i16_sdwa v196, sext(v196) dst_sel:DWORD dst_unused:UNUSED_PAD src0_sel:BYTE_0
	v_pack_b32_f16 v195, v195, v196
	v_pk_lshrrev_b16 v196, 8, v198 op_sel:[1,1] op_sel_hi:[0,1]
	v_lshrrev_b32_e32 v197, 16, v196
	v_cvt_f16_i16_sdwa v196, sext(v196) dst_sel:DWORD dst_unused:UNUSED_PAD src0_sel:BYTE_0
	v_cvt_f16_i16_sdwa v197, sext(v197) dst_sel:DWORD dst_unused:UNUSED_PAD src0_sel:BYTE_0
	v_pack_b32_f16 v196, v196, v197
	v_pk_mul_f16 v195, v195, v194
	v_pk_mul_f16 v194, v196, v194
	v_pk_fma_f16 v198, v195, v18, v199
	v_pk_fma_f16 v18, v194, v18, v200
	v_add_co_u32_e32 v194, vcc, s17, v138
	v_addc_co_u32_e32 v195, vcc, 0, v139, vcc
	v_add_co_u32_e32 v196, vcc, s17, v135
	v_addc_co_u32_e32 v197, vcc, 0, v136, vcc
	global_load_ushort v200, v[194:195], off
	s_nop 0
	global_load_dword v196, v[196:197], off offset:2
	v_mul_u32_u24_sdwa v199, v19, s47 dst_sel:DWORD dst_unused:UNUSED_PAD src0_sel:WORD_0 src1_sel:DWORD
	s_waitcnt vmcnt(7)
	v_mul_u32_u24_e32 v194, 0x10001, v204
	s_waitcnt vmcnt(6)
	v_pk_lshrrev_b16 v195, 8, v205 op_sel:[1,0] op_sel_hi:[0,0]
	v_lshrrev_b32_e32 v197, 16, v195
	v_cvt_f16_i16_sdwa v195, sext(v195) dst_sel:DWORD dst_unused:UNUSED_PAD src0_sel:BYTE_0
	v_cvt_f16_i16_sdwa v197, sext(v197) dst_sel:DWORD dst_unused:UNUSED_PAD src0_sel:BYTE_0
	v_pack_b32_f16 v195, v195, v197
	v_pk_lshrrev_b16 v197, 8, v205 op_sel:[1,1] op_sel_hi:[0,1]
	v_lshrrev_b32_e32 v202, 16, v197
	v_cvt_f16_i16_sdwa v197, sext(v197) dst_sel:DWORD dst_unused:UNUSED_PAD src0_sel:BYTE_0
	v_cvt_f16_i16_sdwa v202, sext(v202) dst_sel:DWORD dst_unused:UNUSED_PAD src0_sel:BYTE_0
	v_pack_b32_f16 v197, v197, v202
	v_pk_mul_f16 v195, v195, v194
	v_pk_mul_f16 v194, v197, v194
	v_pk_fma_f16 v197, v195, v199, v198
	v_pk_fma_f16 v198, v194, v199, v18
	v_add_co_u32_e32 v18, vcc, s17, v133
	v_mul_u32_u24_sdwa v199, v19, s47 dst_sel:DWORD dst_unused:UNUSED_PAD src0_sel:WORD_1 src1_sel:DWORD
	v_addc_co_u32_e32 v19, vcc, 0, v134, vcc
	v_add_co_u32_e32 v194, vcc, s17, v131
	v_addc_co_u32_e32 v195, vcc, 0, v132, vcc
	global_load_ushort v202, v[18:19], off
	global_load_dword v204, v[194:195], off offset:2
	s_waitcnt vmcnt(6)
	v_pk_lshrrev_b16 v19, 8, v207 op_sel:[1,0] op_sel_hi:[0,0]
	v_lshrrev_b32_e32 v194, 16, v19
	v_cvt_f16_i16_sdwa v19, sext(v19) dst_sel:DWORD dst_unused:UNUSED_PAD src0_sel:BYTE_0
	v_cvt_f16_i16_sdwa v194, sext(v194) dst_sel:DWORD dst_unused:UNUSED_PAD src0_sel:BYTE_0
	v_pack_b32_f16 v19, v19, v194
	v_pk_lshrrev_b16 v194, 8, v207 op_sel:[1,1] op_sel_hi:[0,1]
	v_lshrrev_b32_e32 v195, 16, v194
	v_cvt_f16_i16_sdwa v194, sext(v194) dst_sel:DWORD dst_unused:UNUSED_PAD src0_sel:BYTE_0
	v_cvt_f16_i16_sdwa v195, sext(v195) dst_sel:DWORD dst_unused:UNUSED_PAD src0_sel:BYTE_0
	v_mul_u32_u24_e32 v18, 0x10001, v206
	v_pack_b32_f16 v194, v194, v195
	v_pk_mul_f16 v19, v19, v18
	v_pk_mul_f16 v18, v194, v18
	v_pk_fma_f16 v198, v18, v199, v198
	v_add_co_u32_e32 v18, vcc, s17, v129
	v_pk_fma_f16 v197, v19, v199, v197
	v_addc_co_u32_e32 v19, vcc, 0, v130, vcc
	v_add_co_u32_e32 v194, vcc, s17, v127
	v_addc_co_u32_e32 v195, vcc, 0, v128, vcc
	global_load_ushort v205, v[18:19], off
	global_load_dword v206, v[194:195], off offset:2
	v_mul_u32_u24_sdwa v199, v20, s47 dst_sel:DWORD dst_unused:UNUSED_PAD src0_sel:WORD_0 src1_sel:DWORD
	s_waitcnt vmcnt(7)
	v_mul_u32_u24_e32 v18, 0x10001, v201
	s_waitcnt vmcnt(6)
	v_pk_lshrrev_b16 v19, 8, v203 op_sel:[1,0] op_sel_hi:[0,0]
	v_lshrrev_b32_e32 v194, 16, v19
	v_cvt_f16_i16_sdwa v19, sext(v19) dst_sel:DWORD dst_unused:UNUSED_PAD src0_sel:BYTE_0
	v_cvt_f16_i16_sdwa v194, sext(v194) dst_sel:DWORD dst_unused:UNUSED_PAD src0_sel:BYTE_0
	v_pack_b32_f16 v19, v19, v194
	v_pk_lshrrev_b16 v194, 8, v203 op_sel:[1,1] op_sel_hi:[0,1]
	v_lshrrev_b32_e32 v195, 16, v194
	v_cvt_f16_i16_sdwa v194, sext(v194) dst_sel:DWORD dst_unused:UNUSED_PAD src0_sel:BYTE_0
	v_cvt_f16_i16_sdwa v195, sext(v195) dst_sel:DWORD dst_unused:UNUSED_PAD src0_sel:BYTE_0
	v_pack_b32_f16 v194, v194, v195
	v_pk_mul_f16 v19, v19, v18
	v_pk_mul_f16 v18, v194, v18
	v_pk_fma_f16 v198, v18, v199, v198
	v_add_co_u32_e32 v18, vcc, s17, v125
	v_pk_fma_f16 v197, v19, v199, v197
	v_addc_co_u32_e32 v19, vcc, 0, v126, vcc
	v_add_co_u32_e32 v194, vcc, s17, v123
	v_addc_co_u32_e32 v195, vcc, 0, v124, vcc
	global_load_ushort v199, v[18:19], off
	global_load_dword v201, v[194:195], off offset:2
	v_mul_u32_u24_sdwa v20, v20, s47 dst_sel:DWORD dst_unused:UNUSED_PAD src0_sel:WORD_1 src1_sel:DWORD
	s_waitcnt vmcnt(7)
	v_mul_u32_u24_e32 v18, 0x10001, v200
	s_waitcnt vmcnt(6)
	v_pk_lshrrev_b16 v19, 8, v196 op_sel:[1,0] op_sel_hi:[0,0]
	v_lshrrev_b32_e32 v194, 16, v19
	v_cvt_f16_i16_sdwa v19, sext(v19) dst_sel:DWORD dst_unused:UNUSED_PAD src0_sel:BYTE_0
	v_cvt_f16_i16_sdwa v194, sext(v194) dst_sel:DWORD dst_unused:UNUSED_PAD src0_sel:BYTE_0
	v_pack_b32_f16 v19, v19, v194
	v_pk_lshrrev_b16 v194, 8, v196 op_sel:[1,1] op_sel_hi:[0,1]
	v_lshrrev_b32_e32 v195, 16, v194
	v_cvt_f16_i16_sdwa v194, sext(v194) dst_sel:DWORD dst_unused:UNUSED_PAD src0_sel:BYTE_0
	v_cvt_f16_i16_sdwa v195, sext(v195) dst_sel:DWORD dst_unused:UNUSED_PAD src0_sel:BYTE_0
	v_pack_b32_f16 v194, v194, v195
	v_pk_mul_f16 v19, v19, v18
	v_pk_mul_f16 v18, v194, v18
	v_pk_fma_f16 v196, v19, v20, v197
	v_pk_fma_f16 v20, v18, v20, v198
	v_add_co_u32_e32 v18, vcc, s17, v121
	v_addc_co_u32_e32 v19, vcc, 0, v122, vcc
	v_add_co_u32_e32 v194, vcc, s17, v119
	v_addc_co_u32_e32 v195, vcc, 0, v120, vcc
	global_load_ushort v198, v[18:19], off
	s_nop 0
	global_load_dword v194, v[194:195], off offset:2
	v_mul_u32_u24_sdwa v197, v21, s47 dst_sel:DWORD dst_unused:UNUSED_PAD src0_sel:WORD_0 src1_sel:DWORD
	s_waitcnt vmcnt(7)
	v_mul_u32_u24_e32 v18, 0x10001, v202
	s_waitcnt vmcnt(6)
	v_pk_lshrrev_b16 v19, 8, v204 op_sel:[1,0] op_sel_hi:[0,0]
	v_lshrrev_b32_e32 v195, 16, v19
	v_cvt_f16_i16_sdwa v19, sext(v19) dst_sel:DWORD dst_unused:UNUSED_PAD src0_sel:BYTE_0
	v_cvt_f16_i16_sdwa v195, sext(v195) dst_sel:DWORD dst_unused:UNUSED_PAD src0_sel:BYTE_0
	v_pack_b32_f16 v19, v19, v195
	v_pk_lshrrev_b16 v195, 8, v204 op_sel:[1,1] op_sel_hi:[0,1]
	v_lshrrev_b32_e32 v200, 16, v195
	v_cvt_f16_i16_sdwa v195, sext(v195) dst_sel:DWORD dst_unused:UNUSED_PAD src0_sel:BYTE_0
	v_cvt_f16_i16_sdwa v200, sext(v200) dst_sel:DWORD dst_unused:UNUSED_PAD src0_sel:BYTE_0
	v_pack_b32_f16 v195, v195, v200
	v_pk_mul_f16 v19, v19, v18
	v_pk_mul_f16 v18, v195, v18
	v_pk_fma_f16 v195, v19, v197, v196
	v_pk_fma_f16 v196, v18, v197, v20
	v_add_co_u32_e32 v18, vcc, s17, v117
	v_addc_co_u32_e32 v19, vcc, 0, v118, vcc
	v_add_co_u32_e32 v20, vcc, s17, v115
	v_mul_u32_u24_sdwa v197, v21, s47 dst_sel:DWORD dst_unused:UNUSED_PAD src0_sel:WORD_1 src1_sel:DWORD
	v_addc_co_u32_e32 v21, vcc, 0, v116, vcc
	global_load_ushort v200, v[18:19], off
	global_load_dword v202, v[20:21], off offset:2
	s_waitcnt vmcnt(6)
	v_pk_lshrrev_b16 v19, 8, v206 op_sel:[1,0] op_sel_hi:[0,0]
	v_lshrrev_b32_e32 v20, 16, v19
	v_cvt_f16_i16_sdwa v19, sext(v19) dst_sel:DWORD dst_unused:UNUSED_PAD src0_sel:BYTE_0
	v_cvt_f16_i16_sdwa v20, sext(v20) dst_sel:DWORD dst_unused:UNUSED_PAD src0_sel:BYTE_0
	v_pack_b32_f16 v19, v19, v20
	v_pk_lshrrev_b16 v20, 8, v206 op_sel:[1,1] op_sel_hi:[0,1]
	v_lshrrev_b32_e32 v21, 16, v20
	v_cvt_f16_i16_sdwa v20, sext(v20) dst_sel:DWORD dst_unused:UNUSED_PAD src0_sel:BYTE_0
	v_cvt_f16_i16_sdwa v21, sext(v21) dst_sel:DWORD dst_unused:UNUSED_PAD src0_sel:BYTE_0
	v_mul_u32_u24_e32 v18, 0x10001, v205
	v_pack_b32_f16 v20, v20, v21
	v_pk_mul_f16 v19, v19, v18
	v_pk_mul_f16 v18, v20, v18
	v_pk_fma_f16 v196, v18, v197, v196
	v_add_co_u32_e32 v18, vcc, s17, v113
	v_pk_fma_f16 v195, v19, v197, v195
	v_addc_co_u32_e32 v19, vcc, 0, v114, vcc
	v_add_co_u32_e32 v20, vcc, s17, v111
	v_addc_co_u32_e32 v21, vcc, 0, v112, vcc
	global_load_ushort v203, v[18:19], off
	global_load_dword v204, v[20:21], off offset:2
	s_waitcnt vmcnt(7)
	v_mul_u32_u24_e32 v18, 0x10001, v199
	s_waitcnt vmcnt(6)
	v_pk_lshrrev_b16 v19, 8, v201 op_sel:[1,0] op_sel_hi:[0,0]
	v_lshrrev_b32_e32 v20, 16, v19
	v_cvt_f16_i16_sdwa v19, sext(v19) dst_sel:DWORD dst_unused:UNUSED_PAD src0_sel:BYTE_0
	v_cvt_f16_i16_sdwa v20, sext(v20) dst_sel:DWORD dst_unused:UNUSED_PAD src0_sel:BYTE_0
	v_pack_b32_f16 v19, v19, v20
	v_pk_lshrrev_b16 v20, 8, v201 op_sel:[1,1] op_sel_hi:[0,1]
	v_lshrrev_b32_e32 v21, 16, v20
	v_cvt_f16_i16_sdwa v20, sext(v20) dst_sel:DWORD dst_unused:UNUSED_PAD src0_sel:BYTE_0
	v_cvt_f16_i16_sdwa v21, sext(v21) dst_sel:DWORD dst_unused:UNUSED_PAD src0_sel:BYTE_0
	v_pack_b32_f16 v20, v20, v21
	s_waitcnt lgkmcnt(1)
	v_mul_u32_u24_sdwa v197, v14, s47 dst_sel:DWORD dst_unused:UNUSED_PAD src0_sel:WORD_0 src1_sel:DWORD
	v_pk_mul_f16 v19, v19, v18
	v_pk_mul_f16 v18, v20, v18
	v_pk_fma_f16 v196, v18, v197, v196
	v_add_co_u32_e32 v18, vcc, s17, v109
	v_pk_fma_f16 v195, v19, v197, v195
	v_addc_co_u32_e32 v19, vcc, 0, v110, vcc
	v_add_co_u32_e32 v20, vcc, s17, v107
	v_addc_co_u32_e32 v21, vcc, 0, v108, vcc
	global_load_ushort v197, v[18:19], off
	global_load_dword v199, v[20:21], off offset:2
	s_waitcnt vmcnt(7)
	v_mul_u32_u24_e32 v18, 0x10001, v198
	s_waitcnt vmcnt(6)
	v_pk_lshrrev_b16 v19, 8, v194 op_sel:[1,0] op_sel_hi:[0,0]
	v_lshrrev_b32_e32 v20, 16, v19
	v_cvt_f16_i16_sdwa v19, sext(v19) dst_sel:DWORD dst_unused:UNUSED_PAD src0_sel:BYTE_0
	v_cvt_f16_i16_sdwa v20, sext(v20) dst_sel:DWORD dst_unused:UNUSED_PAD src0_sel:BYTE_0
	v_pack_b32_f16 v19, v19, v20
	v_pk_lshrrev_b16 v20, 8, v194 op_sel:[1,1] op_sel_hi:[0,1]
	v_lshrrev_b32_e32 v21, 16, v20
	v_cvt_f16_i16_sdwa v20, sext(v20) dst_sel:DWORD dst_unused:UNUSED_PAD src0_sel:BYTE_0
	v_cvt_f16_i16_sdwa v21, sext(v21) dst_sel:DWORD dst_unused:UNUSED_PAD src0_sel:BYTE_0
	v_pack_b32_f16 v20, v20, v21
	v_mul_u32_u24_sdwa v14, v14, s47 dst_sel:DWORD dst_unused:UNUSED_PAD src0_sel:WORD_1 src1_sel:DWORD
	v_pk_mul_f16 v19, v19, v18
	v_pk_mul_f16 v18, v20, v18
	v_pk_fma_f16 v194, v19, v14, v195
	v_pk_fma_f16 v14, v18, v14, v196
	v_add_co_u32_e32 v18, vcc, s17, v105
	v_addc_co_u32_e32 v19, vcc, 0, v106, vcc
	v_add_co_u32_e32 v20, vcc, s17, v103
	v_addc_co_u32_e32 v21, vcc, 0, v104, vcc
	global_load_ushort v196, v[18:19], off
	s_nop 0
	global_load_dword v20, v[20:21], off offset:2
	v_mul_u32_u24_sdwa v195, v15, s47 dst_sel:DWORD dst_unused:UNUSED_PAD src0_sel:WORD_0 src1_sel:DWORD
	s_waitcnt vmcnt(7)
	v_mul_u32_u24_e32 v18, 0x10001, v200
	s_waitcnt vmcnt(6)
	v_pk_lshrrev_b16 v19, 8, v202 op_sel:[1,0] op_sel_hi:[0,0]
	v_lshrrev_b32_e32 v21, 16, v19
	v_cvt_f16_i16_sdwa v19, sext(v19) dst_sel:DWORD dst_unused:UNUSED_PAD src0_sel:BYTE_0
	v_cvt_f16_i16_sdwa v21, sext(v21) dst_sel:DWORD dst_unused:UNUSED_PAD src0_sel:BYTE_0
	v_pack_b32_f16 v19, v19, v21
	v_pk_lshrrev_b16 v21, 8, v202 op_sel:[1,1] op_sel_hi:[0,1]
	v_lshrrev_b32_e32 v198, 16, v21
	v_cvt_f16_i16_sdwa v21, sext(v21) dst_sel:DWORD dst_unused:UNUSED_PAD src0_sel:BYTE_0
	v_cvt_f16_i16_sdwa v198, sext(v198) dst_sel:DWORD dst_unused:UNUSED_PAD src0_sel:BYTE_0
	v_pack_b32_f16 v21, v21, v198
	v_pk_mul_f16 v19, v19, v18
	v_pk_mul_f16 v18, v21, v18
	v_pk_fma_f16 v21, v19, v195, v194
	v_pk_fma_f16 v194, v18, v195, v14
	v_add_co_u32_e32 v14, vcc, s17, v101
	v_mul_u32_u24_sdwa v195, v15, s47 dst_sel:DWORD dst_unused:UNUSED_PAD src0_sel:WORD_1 src1_sel:DWORD
	v_addc_co_u32_e32 v15, vcc, 0, v102, vcc
	v_add_co_u32_e32 v18, vcc, s17, v99
	v_addc_co_u32_e32 v19, vcc, 0, v100, vcc
	global_load_ushort v198, v[14:15], off
	global_load_dword v200, v[18:19], off offset:2
	s_waitcnt vmcnt(6)
	v_pk_lshrrev_b16 v14, 8, v204 op_sel:[1,0] op_sel_hi:[0,0]
	v_lshrrev_b32_e32 v15, 16, v14
	v_cvt_f16_i16_sdwa v14, sext(v14) dst_sel:DWORD dst_unused:UNUSED_PAD src0_sel:BYTE_0
	v_cvt_f16_i16_sdwa v15, sext(v15) dst_sel:DWORD dst_unused:UNUSED_PAD src0_sel:BYTE_0
	v_pack_b32_f16 v202, v14, v15
	v_add_co_u32_e32 v14, vcc, s17, v97
	v_addc_co_u32_e32 v15, vcc, 0, v98, vcc
	v_add_co_u32_e32 v18, vcc, s17, v95
	v_mul_u32_u24_e32 v201, 0x10001, v203
	v_addc_co_u32_e32 v19, vcc, 0, v96, vcc
	global_load_ushort v203, v[14:15], off
	global_load_dword v205, v[18:19], off offset:2
	v_pk_lshrrev_b16 v15, 8, v204 op_sel:[1,1] op_sel_hi:[0,1]
	v_lshrrev_b32_e32 v18, 16, v15
	v_cvt_f16_i16_sdwa v15, sext(v15) dst_sel:DWORD dst_unused:UNUSED_PAD src0_sel:BYTE_0
	v_cvt_f16_i16_sdwa v18, sext(v18) dst_sel:DWORD dst_unused:UNUSED_PAD src0_sel:BYTE_0
	v_pk_mul_f16 v14, v202, v201
	v_pack_b32_f16 v15, v15, v18
	v_pk_mul_f16 v15, v15, v201
	v_pk_fma_f16 v21, v14, v195, v21
	v_pk_fma_f16 v194, v15, v195, v194
	s_waitcnt vmcnt(7)
	v_mul_u32_u24_e32 v197, 0x10001, v197
	s_waitcnt vmcnt(6)
	v_pk_lshrrev_b16 v14, 8, v199 op_sel:[1,0] op_sel_hi:[0,0]
	v_lshrrev_b32_e32 v15, 16, v14
	v_cvt_f16_i16_sdwa v14, sext(v14) dst_sel:DWORD dst_unused:UNUSED_PAD src0_sel:BYTE_0
	v_cvt_f16_i16_sdwa v15, sext(v15) dst_sel:DWORD dst_unused:UNUSED_PAD src0_sel:BYTE_0
	v_pack_b32_f16 v201, v14, v15
	v_add_co_u32_e32 v14, vcc, s17, v93
	v_addc_co_u32_e32 v15, vcc, 0, v94, vcc
	v_add_co_u32_e32 v18, vcc, s17, v91
	v_addc_co_u32_e32 v19, vcc, 0, v92, vcc
	global_load_ushort v202, v[14:15], off
	global_load_dword v204, v[18:19], off offset:2
	v_mul_u32_u24_sdwa v195, v16, s47 dst_sel:DWORD dst_unused:UNUSED_PAD src0_sel:WORD_0 src1_sel:DWORD
	v_pk_mul_f16 v14, v201, v197
	v_pk_lshrrev_b16 v15, 8, v199 op_sel:[1,1] op_sel_hi:[0,1]
	v_pk_fma_f16 v14, v14, v195, v21
	v_lshrrev_b32_e32 v18, 16, v15
	v_cvt_f16_i16_sdwa v15, sext(v15) dst_sel:DWORD dst_unused:UNUSED_PAD src0_sel:BYTE_0
	v_cvt_f16_i16_sdwa v18, sext(v18) dst_sel:DWORD dst_unused:UNUSED_PAD src0_sel:BYTE_0
	v_pack_b32_f16 v15, v15, v18
	v_pk_mul_f16 v15, v15, v197
	v_mul_u32_u24_sdwa v16, v16, s47 dst_sel:DWORD dst_unused:UNUSED_PAD src0_sel:WORD_1 src1_sel:DWORD
	s_waitcnt vmcnt(7)
	v_mul_u32_u24_e32 v18, 0x10001, v196
	s_waitcnt vmcnt(6)
	v_pk_lshrrev_b16 v19, 8, v20 op_sel:[1,0] op_sel_hi:[0,0]
	v_lshrrev_b32_e32 v21, 16, v19
	v_cvt_f16_i16_sdwa v19, sext(v19) dst_sel:DWORD dst_unused:UNUSED_PAD src0_sel:BYTE_0
	v_cvt_f16_i16_sdwa v21, sext(v21) dst_sel:DWORD dst_unused:UNUSED_PAD src0_sel:BYTE_0
	v_pk_lshrrev_b16 v20, 8, v20 op_sel:[1,1] op_sel_hi:[0,1]
	v_pack_b32_f16 v19, v19, v21
	v_lshrrev_b32_e32 v21, 16, v20
	v_cvt_f16_i16_sdwa v20, sext(v20) dst_sel:DWORD dst_unused:UNUSED_PAD src0_sel:BYTE_0
	v_cvt_f16_i16_sdwa v21, sext(v21) dst_sel:DWORD dst_unused:UNUSED_PAD src0_sel:BYTE_0
	v_pk_mul_f16 v19, v19, v18
	v_pack_b32_f16 v20, v20, v21
	v_pk_fma_f16 v15, v15, v195, v194
	v_pk_mul_f16 v18, v20, v18
	v_pk_fma_f16 v20, v19, v16, v14
	v_add_co_u32_e32 v14, vcc, s17, v89
	v_pk_fma_f16 v16, v18, v16, v15
	v_addc_co_u32_e32 v15, vcc, 0, v90, vcc
	v_add_co_u32_e32 v18, vcc, s17, v87
	v_addc_co_u32_e32 v19, vcc, 0, v88, vcc
	global_load_ushort v194, v[14:15], off
	s_nop 0
	global_load_dword v18, v[18:19], off offset:2
	v_mul_u32_u24_sdwa v21, v17, s47 dst_sel:DWORD dst_unused:UNUSED_PAD src0_sel:WORD_0 src1_sel:DWORD
	s_waitcnt vmcnt(7)
	v_mul_u32_u24_e32 v14, 0x10001, v198
	s_waitcnt vmcnt(6)
	v_pk_lshrrev_b16 v15, 8, v200 op_sel:[1,0] op_sel_hi:[0,0]
	v_lshrrev_b32_e32 v19, 16, v15
	v_cvt_f16_i16_sdwa v15, sext(v15) dst_sel:DWORD dst_unused:UNUSED_PAD src0_sel:BYTE_0
	v_cvt_f16_i16_sdwa v19, sext(v19) dst_sel:DWORD dst_unused:UNUSED_PAD src0_sel:BYTE_0
	v_pack_b32_f16 v15, v15, v19
	v_pk_lshrrev_b16 v19, 8, v200 op_sel:[1,1] op_sel_hi:[0,1]
	v_lshrrev_b32_e32 v195, 16, v19
	v_cvt_f16_i16_sdwa v19, sext(v19) dst_sel:DWORD dst_unused:UNUSED_PAD src0_sel:BYTE_0
	v_cvt_f16_i16_sdwa v195, sext(v195) dst_sel:DWORD dst_unused:UNUSED_PAD src0_sel:BYTE_0
	v_pack_b32_f16 v19, v19, v195
	v_pk_mul_f16 v15, v15, v14
	v_pk_mul_f16 v14, v19, v14
	v_pk_fma_f16 v19, v15, v21, v20
	v_pk_fma_f16 v20, v14, v21, v16
	s_waitcnt vmcnt(5)
	v_mul_u32_u24_e32 v195, 0x10001, v203
	s_waitcnt vmcnt(4)
	v_pk_lshrrev_b16 v14, 8, v205 op_sel:[1,0] op_sel_hi:[0,0]
	v_lshrrev_b32_e32 v15, 16, v14
	v_cvt_f16_i16_sdwa v14, sext(v14) dst_sel:DWORD dst_unused:UNUSED_PAD src0_sel:BYTE_0
	v_cvt_f16_i16_sdwa v15, sext(v15) dst_sel:DWORD dst_unused:UNUSED_PAD src0_sel:BYTE_0
	v_pack_b32_f16 v14, v14, v15
	v_pk_mul_f16 v196, v14, v195
	v_pk_lshrrev_b16 v14, 8, v205 op_sel:[1,1] op_sel_hi:[0,1]
	v_lshrrev_b32_e32 v197, 16, v14
	v_cvt_f16_i16_sdwa v198, sext(v14) dst_sel:DWORD dst_unused:UNUSED_PAD src0_sel:BYTE_0
	v_add_co_u32_e32 v14, vcc, s17, v85
	v_addc_co_u32_e32 v15, vcc, 0, v86, vcc
	v_add_co_u32_e32 v16, vcc, s17, v83
	v_mul_u32_u24_sdwa v21, v17, s47 dst_sel:DWORD dst_unused:UNUSED_PAD src0_sel:WORD_1 src1_sel:DWORD
	v_addc_co_u32_e32 v17, vcc, 0, v84, vcc
	global_load_ushort v199, v[14:15], off
	global_load_dword v200, v[16:17], off offset:2
	v_cvt_f16_i16_sdwa v14, sext(v197) dst_sel:DWORD dst_unused:UNUSED_PAD src0_sel:BYTE_0
	v_pack_b32_f16 v14, v198, v14
	v_pk_mul_f16 v14, v14, v195
	v_pk_fma_f16 v20, v14, v21, v20
	s_waitcnt vmcnt(5)
	v_mul_u32_u24_e32 v195, 0x10001, v202
	s_waitcnt vmcnt(4)
	v_pk_lshrrev_b16 v14, 8, v204 op_sel:[1,0] op_sel_hi:[0,0]
	v_lshrrev_b32_e32 v15, 16, v14
	v_cvt_f16_i16_sdwa v14, sext(v14) dst_sel:DWORD dst_unused:UNUSED_PAD src0_sel:BYTE_0
	v_cvt_f16_i16_sdwa v15, sext(v15) dst_sel:DWORD dst_unused:UNUSED_PAD src0_sel:BYTE_0
	v_pack_b32_f16 v14, v14, v15
	v_pk_fma_f16 v19, v196, v21, v19
	v_pk_mul_f16 v196, v14, v195
	v_pk_lshrrev_b16 v14, 8, v204 op_sel:[1,1] op_sel_hi:[0,1]
	v_lshrrev_b32_e32 v197, 16, v14
	v_cvt_f16_i16_sdwa v198, sext(v14) dst_sel:DWORD dst_unused:UNUSED_PAD src0_sel:BYTE_0
	v_add_co_u32_e32 v14, vcc, s17, v81
	v_addc_co_u32_e32 v15, vcc, 0, v82, vcc
	v_add_co_u32_e32 v16, vcc, s17, v79
	v_addc_co_u32_e32 v17, vcc, 0, v80, vcc
	global_load_ushort v201, v[14:15], off
	global_load_dword v202, v[16:17], off offset:2
	v_cvt_f16_i16_sdwa v14, sext(v197) dst_sel:DWORD dst_unused:UNUSED_PAD src0_sel:BYTE_0
	v_pack_b32_f16 v14, v198, v14
	s_waitcnt lgkmcnt(0)
	v_mul_u32_u24_sdwa v21, v10, s47 dst_sel:DWORD dst_unused:UNUSED_PAD src0_sel:WORD_0 src1_sel:DWORD
	v_pk_mul_f16 v14, v14, v195
	v_pk_fma_f16 v20, v14, v21, v20
	v_add_co_u32_e32 v14, vcc, s17, v77
	v_addc_co_u32_e32 v15, vcc, 0, v78, vcc
	v_add_co_u32_e32 v16, vcc, s17, v75
	v_pk_fma_f16 v19, v196, v21, v19
	v_addc_co_u32_e32 v17, vcc, 0, v76, vcc
	global_load_ushort v21, v[14:15], off
	global_load_dword v195, v[16:17], off offset:2
	s_waitcnt vmcnt(7)
	v_mul_u32_u24_e32 v194, 0x10001, v194
	s_waitcnt vmcnt(6)
	v_pk_lshrrev_b16 v14, 8, v18 op_sel:[1,0] op_sel_hi:[0,0]
	v_lshrrev_b32_e32 v15, 16, v14
	v_cvt_f16_i16_sdwa v14, sext(v14) dst_sel:DWORD dst_unused:UNUSED_PAD src0_sel:BYTE_0
	v_cvt_f16_i16_sdwa v15, sext(v15) dst_sel:DWORD dst_unused:UNUSED_PAD src0_sel:BYTE_0
	v_pack_b32_f16 v196, v14, v15
	v_add_co_u32_e32 v14, vcc, s17, v73
	v_addc_co_u32_e32 v15, vcc, 0, v74, vcc
	v_add_co_u32_e32 v16, vcc, s17, v71
	v_addc_co_u32_e32 v17, vcc, 0, v72, vcc
	global_load_ushort v197, v[14:15], off
	global_load_dword v198, v[16:17], off offset:2
	v_pk_lshrrev_b16 v14, 8, v18 op_sel:[1,1] op_sel_hi:[0,1]
	v_lshrrev_b32_e32 v15, 16, v14
	v_cvt_f16_i16_sdwa v14, sext(v14) dst_sel:DWORD dst_unused:UNUSED_PAD src0_sel:BYTE_0
	v_cvt_f16_i16_sdwa v15, sext(v15) dst_sel:DWORD dst_unused:UNUSED_PAD src0_sel:BYTE_0
	v_pack_b32_f16 v18, v14, v15
	v_add_co_u32_e32 v14, vcc, s17, v69
	v_addc_co_u32_e32 v15, vcc, 0, v70, vcc
	v_add_co_u32_e32 v16, vcc, s17, v67
	v_addc_co_u32_e32 v17, vcc, 0, v68, vcc
	global_load_ushort v203, v[14:15], off
	global_load_dword v204, v[16:17], off offset:2
	v_mul_u32_u24_sdwa v10, v10, s47 dst_sel:DWORD dst_unused:UNUSED_PAD src0_sel:WORD_1 src1_sel:DWORD
	v_pk_mul_f16 v196, v196, v194
	v_pk_mul_f16 v14, v18, v194
	v_pk_fma_f16 v18, v196, v10, v19
	v_pk_fma_f16 v10, v14, v10, v20
	v_add_co_u32_e32 v14, vcc, s17, v65
	v_addc_co_u32_e32 v15, vcc, 0, v66, vcc
	v_add_co_u32_e32 v16, vcc, s17, v63
	v_addc_co_u32_e32 v17, vcc, 0, v64, vcc
	global_load_ushort v14, v[14:15], off
	s_nop 0
	global_load_dword v15, v[16:17], off offset:2
	s_waitcnt vmcnt(10)
	v_pk_lshrrev_b16 v194, 8, v200 op_sel:[1,0] op_sel_hi:[0,0]
	v_lshrrev_b32_e32 v16, 16, v194
	v_cvt_f16_i16_sdwa v17, sext(v194) dst_sel:DWORD dst_unused:UNUSED_PAD src0_sel:BYTE_0
	v_cvt_f16_i16_sdwa v16, sext(v16) dst_sel:DWORD dst_unused:UNUSED_PAD src0_sel:BYTE_0
	v_pack_b32_f16 v16, v17, v16
	v_pk_lshrrev_b16 v17, 8, v200 op_sel:[1,1] op_sel_hi:[0,1]
	v_lshrrev_b32_e32 v194, 16, v17
	v_mul_u32_u24_e32 v20, 0x10001, v199
	v_cvt_f16_i16_sdwa v17, sext(v17) dst_sel:DWORD dst_unused:UNUSED_PAD src0_sel:BYTE_0
	v_cvt_f16_i16_sdwa v194, sext(v194) dst_sel:DWORD dst_unused:UNUSED_PAD src0_sel:BYTE_0
	v_mul_u32_u24_sdwa v19, v11, s47 dst_sel:DWORD dst_unused:UNUSED_PAD src0_sel:WORD_0 src1_sel:DWORD
	v_pk_mul_f16 v16, v16, v20
	v_pack_b32_f16 v17, v17, v194
	v_pk_mul_f16 v17, v17, v20
	v_pk_fma_f16 v16, v16, v19, v18
	v_pk_fma_f16 v10, v17, v19, v10
	v_mul_u32_u24_sdwa v11, v11, s47 dst_sel:DWORD dst_unused:UNUSED_PAD src0_sel:WORD_1 src1_sel:DWORD
	v_add_co_u32_e32 v37, vcc, s21, v37
	v_addc_co_u32_e32 v38, vcc, 0, v38, vcc
	s_waitcnt vmcnt(8)
	v_pk_lshrrev_b16 v18, 8, v202 op_sel:[1,0] op_sel_hi:[0,0]
	v_lshrrev_b32_e32 v19, 16, v18
	v_cvt_f16_i16_sdwa v18, sext(v18) dst_sel:DWORD dst_unused:UNUSED_PAD src0_sel:BYTE_0
	v_cvt_f16_i16_sdwa v19, sext(v19) dst_sel:DWORD dst_unused:UNUSED_PAD src0_sel:BYTE_0
	v_pack_b32_f16 v18, v18, v19
	v_pk_lshrrev_b16 v19, 8, v202 op_sel:[1,1] op_sel_hi:[0,1]
	v_mul_u32_u24_e32 v17, 0x10001, v201
	v_lshrrev_b32_e32 v20, 16, v19
	v_pk_mul_f16 v18, v18, v17
	v_cvt_f16_i16_sdwa v19, sext(v19) dst_sel:DWORD dst_unused:UNUSED_PAD src0_sel:BYTE_0
	v_cvt_f16_i16_sdwa v20, sext(v20) dst_sel:DWORD dst_unused:UNUSED_PAD src0_sel:BYTE_0
	v_pack_b32_f16 v19, v19, v20
	v_pk_fma_f16 v16, v18, v11, v16
	v_pk_mul_f16 v17, v19, v17
	v_pk_fma_f16 v10, v17, v11, v10
	s_waitcnt vmcnt(6)
	v_pk_lshrrev_b16 v18, 8, v195 op_sel:[1,0] op_sel_hi:[0,0]
	v_lshrrev_b32_e32 v19, 16, v18
	v_cvt_f16_i16_sdwa v18, sext(v18) dst_sel:DWORD dst_unused:UNUSED_PAD src0_sel:BYTE_0
	v_cvt_f16_i16_sdwa v19, sext(v19) dst_sel:DWORD dst_unused:UNUSED_PAD src0_sel:BYTE_0
	v_pack_b32_f16 v18, v18, v19
	v_pk_lshrrev_b16 v19, 8, v195 op_sel:[1,1] op_sel_hi:[0,1]
	v_lshrrev_b32_e32 v20, 16, v19
	v_cvt_f16_i16_sdwa v19, sext(v19) dst_sel:DWORD dst_unused:UNUSED_PAD src0_sel:BYTE_0
	v_cvt_f16_i16_sdwa v20, sext(v20) dst_sel:DWORD dst_unused:UNUSED_PAD src0_sel:BYTE_0
	v_mul_u32_u24_e32 v17, 0x10001, v21
	v_pack_b32_f16 v19, v19, v20
	v_mul_u32_u24_sdwa v11, v12, s47 dst_sel:DWORD dst_unused:UNUSED_PAD src0_sel:WORD_0 src1_sel:DWORD
	v_pk_mul_f16 v18, v18, v17
	v_pk_mul_f16 v17, v19, v17
	v_pk_fma_f16 v10, v17, v11, v10
	s_waitcnt vmcnt(4)
	v_pk_lshrrev_b16 v17, 8, v198 op_sel:[1,0] op_sel_hi:[0,0]
	v_pk_fma_f16 v16, v18, v11, v16
	v_lshrrev_b32_e32 v18, 16, v17
	v_cvt_f16_i16_sdwa v17, sext(v17) dst_sel:DWORD dst_unused:UNUSED_PAD src0_sel:BYTE_0
	v_cvt_f16_i16_sdwa v18, sext(v18) dst_sel:DWORD dst_unused:UNUSED_PAD src0_sel:BYTE_0
	v_pack_b32_f16 v17, v17, v18
	v_pk_lshrrev_b16 v18, 8, v198 op_sel:[1,1] op_sel_hi:[0,1]
	v_mul_u32_u24_sdwa v11, v12, s47 dst_sel:DWORD dst_unused:UNUSED_PAD src0_sel:WORD_1 src1_sel:DWORD
	v_mul_u32_u24_e32 v12, 0x10001, v197
	v_lshrrev_b32_e32 v19, 16, v18
	v_pk_mul_f16 v17, v17, v12
	v_cvt_f16_i16_sdwa v18, sext(v18) dst_sel:DWORD dst_unused:UNUSED_PAD src0_sel:BYTE_0
	v_cvt_f16_i16_sdwa v19, sext(v19) dst_sel:DWORD dst_unused:UNUSED_PAD src0_sel:BYTE_0
	v_pack_b32_f16 v18, v18, v19
	v_pk_fma_f16 v16, v17, v11, v16
	s_waitcnt vmcnt(2)
	v_pk_lshrrev_b16 v17, 8, v204 op_sel:[1,0] op_sel_hi:[0,0]
	v_pk_mul_f16 v12, v18, v12
	v_lshrrev_b32_e32 v18, 16, v17
	v_cvt_f16_i16_sdwa v17, sext(v17) dst_sel:DWORD dst_unused:UNUSED_PAD src0_sel:BYTE_0
	v_cvt_f16_i16_sdwa v18, sext(v18) dst_sel:DWORD dst_unused:UNUSED_PAD src0_sel:BYTE_0
	v_pack_b32_f16 v17, v17, v18
	v_pk_lshrrev_b16 v18, 8, v204 op_sel:[1,1] op_sel_hi:[0,1]
	v_lshrrev_b32_e32 v19, 16, v18
	v_cvt_f16_i16_sdwa v18, sext(v18) dst_sel:DWORD dst_unused:UNUSED_PAD src0_sel:BYTE_0
	v_cvt_f16_i16_sdwa v19, sext(v19) dst_sel:DWORD dst_unused:UNUSED_PAD src0_sel:BYTE_0
	v_pk_fma_f16 v10, v12, v11, v10
	v_mul_u32_u24_e32 v12, 0x10001, v203
	v_pack_b32_f16 v18, v18, v19
	v_mul_u32_u24_sdwa v11, v13, s47 dst_sel:DWORD dst_unused:UNUSED_PAD src0_sel:WORD_0 src1_sel:DWORD
	v_pk_mul_f16 v17, v17, v12
	v_pk_mul_f16 v12, v18, v12
	v_pk_fma_f16 v10, v12, v11, v10
	v_mul_u32_u24_sdwa v12, v13, s47 dst_sel:DWORD dst_unused:UNUSED_PAD src0_sel:WORD_1 src1_sel:DWORD
	s_waitcnt vmcnt(0)
	v_pk_lshrrev_b16 v13, 8, v15 op_sel:[1,0] op_sel_hi:[0,0]
	v_pk_fma_f16 v16, v17, v11, v16
	v_mul_u32_u24_e32 v11, 0x10001, v14
	v_lshrrev_b32_e32 v14, 16, v13
	v_cvt_f16_i16_sdwa v13, sext(v13) dst_sel:DWORD dst_unused:UNUSED_PAD src0_sel:BYTE_0
	v_cvt_f16_i16_sdwa v14, sext(v14) dst_sel:DWORD dst_unused:UNUSED_PAD src0_sel:BYTE_0
	v_pack_b32_f16 v13, v13, v14
	v_pk_lshrrev_b16 v14, 8, v15 op_sel:[1,1] op_sel_hi:[0,1]
	v_lshrrev_b32_e32 v15, 16, v14
	v_cvt_f16_i16_sdwa v14, sext(v14) dst_sel:DWORD dst_unused:UNUSED_PAD src0_sel:BYTE_0
	v_cvt_f16_i16_sdwa v15, sext(v15) dst_sel:DWORD dst_unused:UNUSED_PAD src0_sel:BYTE_0
	v_pack_b32_f16 v14, v14, v15
	v_pk_mul_f16 v13, v13, v11
	v_pk_mul_f16 v14, v14, v11
	v_pk_fma_f16 v11, v13, v12, v16
	v_pk_fma_f16 v10, v14, v12, v10
	v_mov_b32_e32 v12, s23
	v_add_co_u32_e32 v30, vcc, s22, v30
	v_addc_co_u32_e32 v31, vcc, v31, v12, vcc
	v_add_co_u32_e32 v39, vcc, s21, v39
	v_addc_co_u32_e32 v40, vcc, 0, v40, vcc
	;; [unrolled: 2-line block ×72, first 2 shown]
	s_cbranch_scc1 .LBB18_38
; %bb.36:                               ;   in Loop: Header=BB18_11 Depth=1
	v_mov_b32_e32 v12, v193
	s_branch .LBB18_11
.LBB18_37:
	v_mov_b32_e32 v11, 0
	v_mov_b32_e32 v193, 0xfeffffff
	;; [unrolled: 1-line block ×3, first 2 shown]
.LBB18_38:
	s_cmp_lg_u64 s[24:25], 0
	v_or_b32_e32 v2, s7, v1
	s_cselect_b64 s[2:3], -1, 0
	v_cmp_eq_u32_e32 vcc, 0, v2
	s_and_b64 s[8:9], vcc, s[2:3]
	s_and_saveexec_b64 s[2:3], s[8:9]
	s_cbranch_execz .LBB18_40
; %bb.39:
	s_lshl_b64 s[8:9], s[40:41], 2
	s_add_u32 s8, s24, s8
	s_addc_u32 s9, s25, s9
	s_load_dword s8, s[8:9], 0x0
	v_max_f32_e32 v2, v193, v193
	s_mov_b32 s9, 0x3fb8aa3b
	s_mov_b32 s10, 0x42b17218
	s_waitcnt lgkmcnt(0)
	v_max_f32_e64 v3, s8, s8
	v_max_f32_e32 v2, v2, v3
	v_sub_f32_e32 v3, s8, v2
	v_mul_f32_e32 v4, 0x3fb8aa3b, v3
	v_fma_f32 v5, v3, s9, -v4
	v_rndne_f32_e32 v6, v4
	v_fmac_f32_e32 v5, 0x32a5705f, v3
	v_sub_f32_e32 v4, v4, v6
	v_add_f32_e32 v4, v4, v5
	v_cvt_i32_f32_e32 v5, v6
	v_exp_f32_e32 v4, v4
	s_mov_b32 s8, 0xc2ce8ed0
	v_cmp_ngt_f32_e32 vcc, s8, v3
	v_ldexp_f32 v4, v4, v5
	v_sub_f32_e32 v5, v193, v2
	v_mul_f32_e32 v6, 0x3fb8aa3b, v5
	v_fma_f32 v7, v5, s9, -v6
	v_rndne_f32_e32 v8, v6
	v_fmac_f32_e32 v7, 0x32a5705f, v5
	v_sub_f32_e32 v6, v6, v8
	v_add_f32_e32 v6, v6, v7
	v_exp_f32_e32 v6, v6
	v_cvt_i32_f32_e32 v7, v8
	v_cndmask_b32_e32 v4, 0, v4, vcc
	v_mov_b32_e32 v8, 0x7f800000
	v_cmp_nlt_f32_e32 vcc, s10, v3
	v_cndmask_b32_e32 v3, v8, v4, vcc
	v_ldexp_f32 v4, v6, v7
	v_cmp_ngt_f32_e32 vcc, s8, v5
	v_cndmask_b32_e32 v4, 0, v4, vcc
	v_cmp_nlt_f32_e32 vcc, s10, v5
	v_cndmask_b32_e32 v4, v8, v4, vcc
	v_cvt_f16_f32_e32 v5, v4
	v_cmp_eq_u32_e32 vcc, 0, v0
	v_cndmask_b32_e32 v3, 0, v3, vcc
	v_fmac_f32_e32 v3, v137, v4
	v_mul_u32_u24_e32 v4, 0x10001, v5
	v_pk_mul_f16 v11, v11, v4
	v_pk_mul_f16 v10, v10, v4
	v_mov_b32_e32 v137, v3
	v_mov_b32_e32 v193, v2
.LBB18_40:
	s_or_b64 exec, exec, s[2:3]
	s_and_saveexec_b64 s[2:3], s[0:1]
; %bb.41:
	v_mov_b32_e32 v2, 0xfeffffff
	v_mov_b32_e32 v3, 0
	v_add_u32_e32 v4, 0x400, v36
	ds_write2_b32 v4, v2, v3 offset1:32
; %bb.42:
	s_or_b64 exec, exec, s[2:3]
	v_cmp_eq_u32_e32 vcc, 0, v0
	v_lshlrev_b32_e32 v4, 2, v1
	s_waitcnt lgkmcnt(0)
	s_barrier
	s_and_saveexec_b64 s[0:1], vcc
; %bb.43:
	ds_write_b32 v4, v193 offset:1024
; %bb.44:
	s_or_b64 exec, exec, s[0:1]
	v_mbcnt_hi_u32_b32 v2, -1, v32
	s_waitcnt lgkmcnt(0)
	s_barrier
	v_and_b32_e32 v3, 0x60, v2
	ds_read_b32 v6, v36 offset:1024
	v_add_u32_e32 v8, 32, v3
	v_xor_b32_e32 v3, 16, v2
	v_cmp_lt_i32_e64 s[0:1], v3, v8
	v_cndmask_b32_e64 v3, v2, v3, s[0:1]
	v_lshlrev_b32_e32 v3, 2, v3
	s_waitcnt lgkmcnt(0)
	ds_bpermute_b32 v7, v3, v6
	v_xor_b32_e32 v5, 8, v2
	v_cmp_lt_i32_e64 s[0:1], v5, v8
	v_cndmask_b32_e64 v5, v2, v5, s[0:1]
	v_max_f32_e32 v6, v6, v6
	s_waitcnt lgkmcnt(0)
	v_max_f32_e32 v7, v7, v7
	v_lshlrev_b32_e32 v5, 2, v5
	v_max_f32_e32 v7, v6, v7
	ds_bpermute_b32 v9, v5, v7
	v_xor_b32_e32 v6, 4, v2
	v_cmp_lt_i32_e64 s[0:1], v6, v8
	v_cndmask_b32_e64 v6, v2, v6, s[0:1]
	v_lshlrev_b32_e32 v6, 2, v6
	s_waitcnt lgkmcnt(0)
	v_max_f32_e32 v9, v9, v9
	v_max_f32_e32 v9, v7, v9
	ds_bpermute_b32 v12, v6, v9
	v_xor_b32_e32 v7, 2, v2
	v_cmp_lt_i32_e64 s[0:1], v7, v8
	v_cndmask_b32_e64 v7, v2, v7, s[0:1]
	v_lshlrev_b32_e32 v7, 2, v7
	s_waitcnt lgkmcnt(0)
	v_max_f32_e32 v12, v12, v12
	;; [unrolled: 8-line block ×3, first 2 shown]
	v_max_f32_e32 v2, v9, v2
	ds_bpermute_b32 v9, v8, v2
	s_mov_b32 s0, 0x3fb8aa3b
	s_load_dword s3, s[4:5], 0xd4
	s_waitcnt lgkmcnt(0)
	v_max_f32_e32 v9, v9, v9
	v_max_f32_e32 v2, v2, v9
	v_sub_f32_e32 v9, v193, v2
	v_mul_f32_e32 v12, 0x3fb8aa3b, v9
	v_fma_f32 v13, v9, s0, -v12
	v_rndne_f32_e32 v14, v12
	v_fmac_f32_e32 v13, 0x32a5705f, v9
	v_sub_f32_e32 v12, v12, v14
	v_add_f32_e32 v12, v12, v13
	v_exp_f32_e32 v12, v12
	v_cvt_i32_f32_e32 v13, v14
	s_mov_b32 s0, 0xc2ce8ed0
	v_cmp_ngt_f32_e64 s[0:1], s0, v9
	v_lshlrev_b32_e32 v14, 3, v0
	v_ldexp_f32 v12, v12, v13
	v_cndmask_b32_e64 v12, 0, v12, s[0:1]
	s_mov_b32 s0, 0x42b17218
	v_mov_b32_e32 v13, 0x7f800000
	v_cmp_nlt_f32_e64 s[0:1], s0, v9
	v_cndmask_b32_e64 v9, v13, v12, s[0:1]
	v_mul_f32_e32 v12, v137, v9
	ds_bpermute_b32 v12, v3, v12
	v_lshl_add_u32 v1, v1, 8, v14
	s_waitcnt lgkmcnt(0)
	v_fmac_f32_e32 v12, v137, v9
	ds_bpermute_b32 v13, v5, v12
	v_cvt_f16_f32_e32 v9, v9
	s_waitcnt lgkmcnt(0)
	v_add_f32_e32 v12, v12, v13
	ds_bpermute_b32 v13, v6, v12
	v_mul_u32_u24_e32 v15, 0x10001, v9
	v_pk_mul_f16 v11, v11, v15
	s_waitcnt lgkmcnt(0)
	v_add_f32_e32 v12, v12, v13
	ds_bpermute_b32 v13, v7, v12
	s_waitcnt lgkmcnt(0)
	v_add_f32_e32 v0, v12, v13
	ds_bpermute_b32 v9, v8, v0
	v_pk_mul_f16 v12, v10, v15
	ds_write_b64 v1, v[11:12]
	s_and_saveexec_b64 s[0:1], vcc
	s_cbranch_execz .LBB18_46
; %bb.45:
	s_waitcnt lgkmcnt(1)
	v_add_f32_e32 v0, v0, v9
	ds_write_b32 v4, v0 offset:1152
.LBB18_46:
	s_or_b64 exec, exec, s[0:1]
	s_waitcnt lgkmcnt(0)
	s_barrier
	ds_read_b32 v0, v36 offset:1152
	ds_read_u16 v1, v35
	ds_read_u16 v4, v35 offset:256
	ds_read_u16 v9, v35 offset:512
	ds_read_u16 v10, v35 offset:768
	s_waitcnt lgkmcnt(4)
	ds_bpermute_b32 v3, v3, v0
	s_waitcnt lgkmcnt(4)
	v_cvt_f32_f16_e32 v1, v1
	s_waitcnt lgkmcnt(3)
	v_cvt_f32_f16_e32 v4, v4
	s_waitcnt lgkmcnt(0)
	v_add_f32_e32 v0, v0, v3
	ds_bpermute_b32 v3, v5, v0
	v_cvt_f32_f16_e32 v5, v9
	v_add_f32_e32 v1, 0, v1
	v_add_f32_e32 v1, v1, v4
	s_waitcnt lgkmcnt(0)
	v_add_f32_e32 v0, v0, v3
	ds_bpermute_b32 v3, v6, v0
	v_cvt_f32_f16_e32 v6, v10
	v_add_f32_e32 v1, v1, v5
	s_waitcnt lgkmcnt(0)
	v_add_f32_e32 v0, v0, v3
	ds_bpermute_b32 v3, v7, v0
	v_add_f32_e32 v6, v1, v6
	s_waitcnt lgkmcnt(0)
	v_add_f32_e32 v0, v0, v3
	ds_bpermute_b32 v3, v8, v0
	v_mov_b32_e32 v8, s29
	s_waitcnt lgkmcnt(0)
	v_add_f32_e32 v3, v0, v3
	v_div_scale_f32 v0, s[0:1], v3, v3, v6
	v_div_scale_f32 v1, vcc, v6, v3, v6
	s_mul_i32 s0, s33, s34
	s_add_i32 s0, s0, s6
	s_mul_i32 s0, s0, s35
	s_add_i32 s0, s0, s40
	;; [unrolled: 2-line block ×3, first 2 shown]
	s_cmp_eq_u32 s3, 1
	v_rcp_f32_e32 v4, v0
	v_fma_f32 v5, -v0, v4, 1.0
	v_fmac_f32_e32 v4, v5, v4
	v_mul_f32_e32 v5, v1, v4
	v_fma_f32 v7, -v0, v5, v1
	v_fmac_f32_e32 v5, v7, v4
	v_fma_f32 v0, -v0, v5, v1
	v_div_fmas_f32 v7, v0, v4, v5
	v_mov_b32_e32 v1, 0
	v_lshl_or_b32 v0, s2, 7, v34
	v_lshlrev_b64 v[4:5], 2, v[0:1]
	v_cmp_eq_u32_e32 vcc, 0, v34
	v_add_co_u32_e64 v4, s[0:1], s28, v4
	v_addc_co_u32_e64 v5, s[0:1], v8, v5, s[0:1]
	s_cselect_b64 s[0:1], -1, 0
	s_cmp_lg_u32 s3, 1
	v_div_fixup_f32 v0, v7, v3, v6
	v_cndmask_b32_e64 v0, v6, v0, s[0:1]
	s_cselect_b64 s[0:1], -1, 0
	s_and_b64 s[0:1], vcc, s[0:1]
	global_store_dword v[4:5], v0, off
	s_and_saveexec_b64 s[4:5], s[0:1]
	s_cbranch_execz .LBB18_48
; %bb.47:
	s_mov_b32 s3, 0
	s_lshl_b64 s[0:1], s[2:3], 3
	s_add_u32 s0, s30, s0
	s_addc_u32 s1, s31, s1
	global_store_dwordx2 v1, v[2:3], s[0:1]
.LBB18_48:
	s_endpgm
	.section	.rodata,"a",@progbits
	.p2align	6, 0x0
	.amdhsa_kernel _ZL18flash_attn_ext_vecILi128ELi1EL9ggml_type2ELS0_8ELb1EEvPKcS2_S2_S2_S2_PKiPfP15HIP_vector_typeIfLj2EEffffjfiS6_IjLj3EEiiiiiiiiiiiliiliiiiil
		.amdhsa_group_segment_fixed_size 1280
		.amdhsa_private_segment_fixed_size 0
		.amdhsa_kernarg_size 464
		.amdhsa_user_sgpr_count 6
		.amdhsa_user_sgpr_private_segment_buffer 1
		.amdhsa_user_sgpr_dispatch_ptr 0
		.amdhsa_user_sgpr_queue_ptr 0
		.amdhsa_user_sgpr_kernarg_segment_ptr 1
		.amdhsa_user_sgpr_dispatch_id 0
		.amdhsa_user_sgpr_flat_scratch_init 0
		.amdhsa_user_sgpr_private_segment_size 0
		.amdhsa_uses_dynamic_stack 0
		.amdhsa_system_sgpr_private_segment_wavefront_offset 0
		.amdhsa_system_sgpr_workgroup_id_x 1
		.amdhsa_system_sgpr_workgroup_id_y 1
		.amdhsa_system_sgpr_workgroup_id_z 1
		.amdhsa_system_sgpr_workgroup_info 0
		.amdhsa_system_vgpr_workitem_id 1
		.amdhsa_next_free_vgpr 213
		.amdhsa_next_free_sgpr 59
		.amdhsa_reserve_vcc 1
		.amdhsa_reserve_flat_scratch 0
		.amdhsa_float_round_mode_32 0
		.amdhsa_float_round_mode_16_64 0
		.amdhsa_float_denorm_mode_32 3
		.amdhsa_float_denorm_mode_16_64 3
		.amdhsa_dx10_clamp 1
		.amdhsa_ieee_mode 1
		.amdhsa_fp16_overflow 0
		.amdhsa_exception_fp_ieee_invalid_op 0
		.amdhsa_exception_fp_denorm_src 0
		.amdhsa_exception_fp_ieee_div_zero 0
		.amdhsa_exception_fp_ieee_overflow 0
		.amdhsa_exception_fp_ieee_underflow 0
		.amdhsa_exception_fp_ieee_inexact 0
		.amdhsa_exception_int_div_zero 0
	.end_amdhsa_kernel
	.section	.text._ZL18flash_attn_ext_vecILi128ELi1EL9ggml_type2ELS0_8ELb1EEvPKcS2_S2_S2_S2_PKiPfP15HIP_vector_typeIfLj2EEffffjfiS6_IjLj3EEiiiiiiiiiiiliiliiiiil,"axG",@progbits,_ZL18flash_attn_ext_vecILi128ELi1EL9ggml_type2ELS0_8ELb1EEvPKcS2_S2_S2_S2_PKiPfP15HIP_vector_typeIfLj2EEffffjfiS6_IjLj3EEiiiiiiiiiiiliiliiiiil,comdat
.Lfunc_end18:
	.size	_ZL18flash_attn_ext_vecILi128ELi1EL9ggml_type2ELS0_8ELb1EEvPKcS2_S2_S2_S2_PKiPfP15HIP_vector_typeIfLj2EEffffjfiS6_IjLj3EEiiiiiiiiiiiliiliiiiil, .Lfunc_end18-_ZL18flash_attn_ext_vecILi128ELi1EL9ggml_type2ELS0_8ELb1EEvPKcS2_S2_S2_S2_PKiPfP15HIP_vector_typeIfLj2EEffffjfiS6_IjLj3EEiiiiiiiiiiiliiliiiiil
                                        ; -- End function
	.set _ZL18flash_attn_ext_vecILi128ELi1EL9ggml_type2ELS0_8ELb1EEvPKcS2_S2_S2_S2_PKiPfP15HIP_vector_typeIfLj2EEffffjfiS6_IjLj3EEiiiiiiiiiiiliiliiiiil.num_vgpr, 213
	.set _ZL18flash_attn_ext_vecILi128ELi1EL9ggml_type2ELS0_8ELb1EEvPKcS2_S2_S2_S2_PKiPfP15HIP_vector_typeIfLj2EEffffjfiS6_IjLj3EEiiiiiiiiiiiliiliiiiil.num_agpr, 0
	.set _ZL18flash_attn_ext_vecILi128ELi1EL9ggml_type2ELS0_8ELb1EEvPKcS2_S2_S2_S2_PKiPfP15HIP_vector_typeIfLj2EEffffjfiS6_IjLj3EEiiiiiiiiiiiliiliiiiil.numbered_sgpr, 59
	.set _ZL18flash_attn_ext_vecILi128ELi1EL9ggml_type2ELS0_8ELb1EEvPKcS2_S2_S2_S2_PKiPfP15HIP_vector_typeIfLj2EEffffjfiS6_IjLj3EEiiiiiiiiiiiliiliiiiil.num_named_barrier, 0
	.set _ZL18flash_attn_ext_vecILi128ELi1EL9ggml_type2ELS0_8ELb1EEvPKcS2_S2_S2_S2_PKiPfP15HIP_vector_typeIfLj2EEffffjfiS6_IjLj3EEiiiiiiiiiiiliiliiiiil.private_seg_size, 0
	.set _ZL18flash_attn_ext_vecILi128ELi1EL9ggml_type2ELS0_8ELb1EEvPKcS2_S2_S2_S2_PKiPfP15HIP_vector_typeIfLj2EEffffjfiS6_IjLj3EEiiiiiiiiiiiliiliiiiil.uses_vcc, 1
	.set _ZL18flash_attn_ext_vecILi128ELi1EL9ggml_type2ELS0_8ELb1EEvPKcS2_S2_S2_S2_PKiPfP15HIP_vector_typeIfLj2EEffffjfiS6_IjLj3EEiiiiiiiiiiiliiliiiiil.uses_flat_scratch, 0
	.set _ZL18flash_attn_ext_vecILi128ELi1EL9ggml_type2ELS0_8ELb1EEvPKcS2_S2_S2_S2_PKiPfP15HIP_vector_typeIfLj2EEffffjfiS6_IjLj3EEiiiiiiiiiiiliiliiiiil.has_dyn_sized_stack, 0
	.set _ZL18flash_attn_ext_vecILi128ELi1EL9ggml_type2ELS0_8ELb1EEvPKcS2_S2_S2_S2_PKiPfP15HIP_vector_typeIfLj2EEffffjfiS6_IjLj3EEiiiiiiiiiiiliiliiiiil.has_recursion, 0
	.set _ZL18flash_attn_ext_vecILi128ELi1EL9ggml_type2ELS0_8ELb1EEvPKcS2_S2_S2_S2_PKiPfP15HIP_vector_typeIfLj2EEffffjfiS6_IjLj3EEiiiiiiiiiiiliiliiiiil.has_indirect_call, 0
	.section	.AMDGPU.csdata,"",@progbits
; Kernel info:
; codeLenInByte = 14940
; TotalNumSgprs: 63
; NumVgprs: 213
; ScratchSize: 0
; MemoryBound: 0
; FloatMode: 240
; IeeeMode: 1
; LDSByteSize: 1280 bytes/workgroup (compile time only)
; SGPRBlocks: 7
; VGPRBlocks: 53
; NumSGPRsForWavesPerEU: 63
; NumVGPRsForWavesPerEU: 213
; Occupancy: 1
; WaveLimiterHint : 0
; COMPUTE_PGM_RSRC2:SCRATCH_EN: 0
; COMPUTE_PGM_RSRC2:USER_SGPR: 6
; COMPUTE_PGM_RSRC2:TRAP_HANDLER: 0
; COMPUTE_PGM_RSRC2:TGID_X_EN: 1
; COMPUTE_PGM_RSRC2:TGID_Y_EN: 1
; COMPUTE_PGM_RSRC2:TGID_Z_EN: 1
; COMPUTE_PGM_RSRC2:TIDIG_COMP_CNT: 1
	.section	.text._ZL18flash_attn_ext_vecILi128ELi2EL9ggml_type2ELS0_8ELb0EEvPKcS2_S2_S2_S2_PKiPfP15HIP_vector_typeIfLj2EEffffjfiS6_IjLj3EEiiiiiiiiiiiliiliiiiil,"axG",@progbits,_ZL18flash_attn_ext_vecILi128ELi2EL9ggml_type2ELS0_8ELb0EEvPKcS2_S2_S2_S2_PKiPfP15HIP_vector_typeIfLj2EEffffjfiS6_IjLj3EEiiiiiiiiiiiliiliiiiil,comdat
	.globl	_ZL18flash_attn_ext_vecILi128ELi2EL9ggml_type2ELS0_8ELb0EEvPKcS2_S2_S2_S2_PKiPfP15HIP_vector_typeIfLj2EEffffjfiS6_IjLj3EEiiiiiiiiiiiliiliiiiil ; -- Begin function _ZL18flash_attn_ext_vecILi128ELi2EL9ggml_type2ELS0_8ELb0EEvPKcS2_S2_S2_S2_PKiPfP15HIP_vector_typeIfLj2EEffffjfiS6_IjLj3EEiiiiiiiiiiiliiliiiiil
	.p2align	8
	.type	_ZL18flash_attn_ext_vecILi128ELi2EL9ggml_type2ELS0_8ELb0EEvPKcS2_S2_S2_S2_PKiPfP15HIP_vector_typeIfLj2EEffffjfiS6_IjLj3EEiiiiiiiiiiiliiliiiiil,@function
_ZL18flash_attn_ext_vecILi128ELi2EL9ggml_type2ELS0_8ELb0EEvPKcS2_S2_S2_S2_PKiPfP15HIP_vector_typeIfLj2EEffffjfiS6_IjLj3EEiiiiiiiiiiiliiliiiiil: ; @_ZL18flash_attn_ext_vecILi128ELi2EL9ggml_type2ELS0_8ELb0EEvPKcS2_S2_S2_S2_PKiPfP15HIP_vector_typeIfLj2EEffffjfiS6_IjLj3EEiiiiiiiiiiiliiliiiiil
; %bb.0:
	s_load_dwordx2 s[22:23], s[4:5], 0x64
	s_load_dwordx2 s[52:53], s[4:5], 0x80
	s_load_dwordx2 s[28:29], s[4:5], 0xb8
	s_add_u32 s0, s0, s9
	s_addc_u32 s1, s1, 0
	s_waitcnt lgkmcnt(0)
	v_cvt_f32_u32_e32 v2, s23
	s_sub_i32 s9, 0, s23
	v_mov_b32_e32 v56, 1.0
	v_rcp_iflag_f32_e32 v2, v2
	v_mul_f32_e32 v2, 0x4f7ffffe, v2
	v_cvt_u32_f32_e32 v2, v2
	v_readfirstlane_b32 s10, v2
	s_mul_i32 s9, s9, s10
	s_mul_hi_u32 s9, s10, s9
	s_add_i32 s10, s10, s9
	s_mul_hi_u32 s9, s8, s10
	s_mul_i32 s10, s9, s23
	s_sub_i32 s10, s8, s10
	s_add_i32 s11, s9, 1
	s_sub_i32 s12, s10, s23
	s_cmp_ge_u32 s10, s23
	s_cselect_b32 s9, s11, s9
	s_cselect_b32 s10, s12, s10
	s_add_i32 s11, s9, 1
	s_cmp_ge_u32 s10, s23
	s_cselect_b32 s54, s11, s9
	s_abs_i32 s9, s53
	v_cvt_f32_u32_e32 v2, s9
	s_mul_i32 s12, s54, s23
	s_sub_i32 s13, 0, s9
	s_sub_i32 s24, s8, s12
	v_rcp_iflag_f32_e32 v2, v2
	s_abs_i32 s11, s23
	s_xor_b32 s10, s23, s53
	s_ashr_i32 s10, s10, 31
	v_mul_f32_e32 v2, 0x4f7ffffe, v2
	v_cvt_u32_f32_e32 v2, v2
	v_readfirstlane_b32 s8, v2
	s_mul_i32 s13, s13, s8
	s_mul_hi_u32 s12, s8, s13
	s_add_i32 s8, s8, s12
	s_mul_hi_u32 s8, s11, s8
	s_mul_i32 s12, s8, s9
	s_sub_i32 s11, s11, s12
	s_add_i32 s13, s8, 1
	s_sub_i32 s12, s11, s9
	s_cmp_ge_u32 s11, s9
	s_cselect_b32 s8, s13, s8
	s_cselect_b32 s11, s12, s11
	s_add_i32 s12, s8, 1
	s_cmp_ge_u32 s11, s9
	s_cselect_b32 s8, s12, s8
	s_xor_b32 s8, s8, s10
	s_sub_i32 s31, s8, s10
	s_abs_i32 s28, s28
	s_abs_i32 s30, s31
	v_cvt_f32_u32_e32 v2, s28
	v_cvt_f32_u32_e32 v3, s30
	s_load_dwordx4 s[12:15], s[4:5], 0x40
	s_load_dword s8, s[4:5], 0x50
	v_rcp_iflag_f32_e32 v2, v2
	v_rcp_iflag_f32_e32 v3, v3
	s_waitcnt lgkmcnt(0)
	v_cmp_le_f32_e64 s[10:11], s13, 0
	s_and_b64 vcc, exec, s[10:11]
	v_mul_f32_e32 v2, 0x4f7ffffe, v2
	v_mul_f32_e32 v3, 0x4f7ffffe, v3
	v_cvt_u32_f32_e32 v2, v2
	v_cvt_u32_f32_e32 v3, v3
	v_readfirstlane_b32 s18, v2
	v_readfirstlane_b32 s19, v3
	s_cbranch_vccnz .LBB19_2
; %bb.1:
	v_mov_b32_e32 v2, s8
	v_sub_co_u32_e32 v2, vcc, s24, v2
	v_mov_b32_e32 v3, s15
	v_mov_b32_e32 v4, s14
	s_add_i32 s8, s24, 1
	v_lshlrev_b32_e32 v2, 1, v2
	v_cndmask_b32_e32 v3, v3, v4, vcc
	v_or_b32_e32 v2, 1, v2
	v_mov_b32_e32 v4, s8
	v_cndmask_b32_e32 v2, v2, v4, vcc
	v_cvt_f32_i32_e32 v2, v2
	v_cmp_neq_f32_e32 vcc, 1.0, v3
	s_mov_b32 s8, 0x3f2aaaab
	s_movk_i32 s10, 0x204
	v_cndmask_b32_e32 v4, 1.0, v2, vcc
	v_cmp_neq_f32_e32 vcc, 0, v4
	v_cndmask_b32_e32 v5, 1.0, v3, vcc
	v_frexp_mant_f32_e64 v2, |v5|
	v_cmp_gt_f32_e32 vcc, s8, v2
	v_cndmask_b32_e64 v3, 1.0, 2.0, vcc
	v_mul_f32_e32 v2, v2, v3
	v_add_f32_e32 v3, 1.0, v2
	v_rcp_f32_e32 v6, v3
	v_add_f32_e32 v7, -1.0, v2
	v_add_f32_e32 v8, -1.0, v3
	v_sub_f32_e32 v2, v2, v8
	v_mul_f32_e32 v8, v7, v6
	v_mul_f32_e32 v9, v3, v8
	v_fma_f32 v3, v8, v3, -v9
	v_fmac_f32_e32 v3, v8, v2
	v_add_f32_e32 v2, v9, v3
	v_sub_f32_e32 v10, v7, v2
	v_sub_f32_e32 v9, v2, v9
	;; [unrolled: 1-line block ×5, first 2 shown]
	v_add_f32_e32 v2, v3, v2
	v_add_f32_e32 v2, v10, v2
	v_mul_f32_e32 v2, v6, v2
	v_add_f32_e32 v6, v8, v2
	v_sub_f32_e32 v3, v6, v8
	v_sub_f32_e32 v7, v2, v3
	v_mul_f32_e32 v2, v6, v6
	v_fma_f32 v3, v6, v6, -v2
	v_add_f32_e32 v8, v7, v7
	v_fmac_f32_e32 v3, v6, v8
	v_add_f32_e32 v8, v2, v3
	v_mov_b32_e32 v9, 0x3e91f4c4
	v_sub_f32_e32 v2, v8, v2
	v_fmac_f32_e32 v9, 0x3e76c4e1, v8
	v_mov_b32_e32 v10, 0x3ecccdef
	v_sub_f32_e32 v2, v3, v2
	v_mul_f32_e32 v3, v6, v8
	v_fmac_f32_e32 v10, v8, v9
	v_fma_f32 v9, v8, v6, -v3
	v_fmac_f32_e32 v9, v8, v7
	v_fmac_f32_e32 v9, v2, v6
	v_add_f32_e32 v11, v3, v9
	v_sub_f32_e32 v3, v11, v3
	v_sub_f32_e32 v9, v9, v3
	v_mul_f32_e32 v3, v8, v10
	v_fma_f32 v8, v8, v10, -v3
	v_fmac_f32_e32 v8, v2, v10
	v_add_f32_e32 v10, v3, v8
	v_sub_f32_e32 v2, v10, v3
	v_sub_f32_e32 v8, v8, v2
	v_cvt_f64_f32_e64 v[2:3], |v5|
	v_add_f32_e32 v12, 0x3f2aaaaa, v10
	v_add_f32_e32 v13, 0xbf2aaaaa, v12
	;; [unrolled: 1-line block ×3, first 2 shown]
	v_frexp_exp_i32_f64_e32 v2, v[2:3]
	v_sub_f32_e32 v10, v10, v13
	v_add_f32_e32 v3, v8, v10
	v_add_f32_e32 v8, v12, v3
	v_sub_f32_e32 v10, v12, v8
	v_add_f32_e32 v3, v3, v10
	v_mul_f32_e32 v10, v11, v8
	v_fma_f32 v12, v11, v8, -v10
	v_subbrev_co_u32_e32 v2, vcc, 0, v2, vcc
	v_cvt_f32_i32_e32 v2, v2
	v_fmac_f32_e32 v12, v11, v3
	s_mov_b32 s8, 0x3f317218
	v_fmac_f32_e32 v12, v9, v8
	v_mul_f32_e32 v3, 0x3f317218, v2
	v_fma_f32 v8, v2, s8, -v3
	v_fmac_f32_e32 v8, 0xb102e308, v2
	v_ldexp_f32 v2, v7, 1
	v_add_f32_e32 v7, v3, v8
	v_sub_f32_e32 v3, v7, v3
	v_ldexp_f32 v6, v6, 1
	v_sub_f32_e32 v3, v8, v3
	v_add_f32_e32 v8, v10, v12
	v_sub_f32_e32 v9, v8, v10
	v_add_f32_e32 v10, v6, v8
	v_sub_f32_e32 v9, v12, v9
	v_sub_f32_e32 v6, v10, v6
	;; [unrolled: 1-line block ×3, first 2 shown]
	v_add_f32_e32 v2, v2, v9
	v_add_f32_e32 v2, v2, v6
	;; [unrolled: 1-line block ×3, first 2 shown]
	v_sub_f32_e32 v8, v6, v10
	v_sub_f32_e32 v2, v2, v8
	v_add_f32_e32 v8, v7, v6
	v_sub_f32_e32 v9, v8, v7
	v_sub_f32_e32 v10, v8, v9
	;; [unrolled: 1-line block ×4, first 2 shown]
	v_add_f32_e32 v6, v6, v7
	v_add_f32_e32 v7, v3, v2
	v_sub_f32_e32 v9, v7, v3
	v_sub_f32_e32 v10, v7, v9
	;; [unrolled: 1-line block ×4, first 2 shown]
	v_add_f32_e32 v2, v2, v3
	v_add_f32_e32 v3, v7, v6
	;; [unrolled: 1-line block ×3, first 2 shown]
	v_sub_f32_e32 v7, v6, v8
	v_sub_f32_e32 v3, v3, v7
	v_add_f32_e32 v2, v2, v3
	v_add_f32_e32 v3, v6, v2
	v_sub_f32_e32 v6, v3, v6
	v_sub_f32_e32 v2, v2, v6
	v_mul_f32_e32 v6, v4, v3
	v_fma_f32 v3, v4, v3, -v6
	v_fmac_f32_e32 v3, v4, v2
	v_add_f32_e32 v2, v6, v3
	v_cmp_class_f32_e64 vcc, v6, s10
	v_sub_f32_e32 v7, v2, v6
	v_cndmask_b32_e32 v2, v2, v6, vcc
	s_mov_b32 s9, 0x42b17218
	v_mov_b32_e32 v6, 0x37000000
	v_cmp_eq_f32_e32 vcc, s9, v2
	v_cndmask_b32_e32 v6, 0, v6, vcc
	v_sub_f32_e32 v3, v3, v7
	v_sub_f32_e32 v7, v2, v6
	s_mov_b32 s11, 0x3fb8aa3b
	v_mul_f32_e32 v8, 0x3fb8aa3b, v7
	v_fma_f32 v9, v7, s11, -v8
	v_rndne_f32_e32 v10, v8
	v_fmac_f32_e32 v9, 0x32a5705f, v7
	v_sub_f32_e32 v8, v8, v10
	v_add_f32_e32 v8, v8, v9
	v_exp_f32_e32 v8, v8
	v_cvt_i32_f32_e32 v9, v10
	s_mov_b32 s8, 0x7f800000
	v_cmp_neq_f32_e64 vcc, |v2|, s8
	s_mov_b32 s8, 0xc2ce8ed0
	v_cndmask_b32_e32 v2, 0, v3, vcc
	v_ldexp_f32 v3, v8, v9
	v_cmp_ngt_f32_e32 vcc, s8, v7
	v_add_f32_e32 v2, v6, v2
	v_cndmask_b32_e32 v3, 0, v3, vcc
	v_mov_b32_e32 v6, 0x7f800000
	v_cmp_nlt_f32_e32 vcc, s9, v7
	v_cndmask_b32_e32 v3, v6, v3, vcc
	v_fma_f32 v2, v3, v2, v3
	v_cmp_class_f32_e64 vcc, v3, s10
	v_cndmask_b32_e32 v2, v2, v3, vcc
	v_trunc_f32_e32 v3, v4
	v_cmp_eq_f32_e32 vcc, v3, v4
	v_mul_f32_e32 v3, 0.5, v4
	v_trunc_f32_e32 v8, v3
	v_cmp_neq_f32_e64 s[8:9], v8, v3
	s_and_b64 s[8:9], vcc, s[8:9]
	v_cndmask_b32_e64 v3, 1.0, v5, s[8:9]
	s_brev_b32 s13, -2
	v_mov_b32_e32 v7, 0x7fc00000
	v_bfi_b32 v2, s13, v2, v3
	v_cndmask_b32_e32 v3, v7, v2, vcc
	v_cmp_gt_f32_e32 vcc, 0, v5
	v_cndmask_b32_e32 v2, v2, v3, vcc
	v_cmp_class_f32_e64 s[14:15], v5, s10
	v_cmp_eq_f32_e32 vcc, 0, v5
	v_cmp_gt_f32_e64 s[10:11], 0, v4
	s_xor_b64 s[10:11], s[10:11], vcc
	v_cndmask_b32_e64 v3, v6, 0, s[10:11]
	v_cndmask_b32_e64 v4, 0, v5, s[8:9]
	v_bfi_b32 v3, s13, v3, v4
	s_or_b64 vcc, vcc, s[14:15]
	v_cndmask_b32_e32 v2, v2, v3, vcc
	v_cmp_o_f32_e32 vcc, v5, v5
	v_cndmask_b32_e32 v56, v7, v2, vcc
.LBB19_2:
	s_load_dwordx16 s[36:51], s[4:5], 0x0
	s_lshl_b32 s33, s6, 1
	v_mov_b32_e32 v14, 0
	v_cmp_lt_u32_e64 s[20:21], 1, v1
	v_cmp_gt_u32_e32 vcc, 2, v1
	v_lshlrev_b32_e32 v52, 8, v1
	v_lshlrev_b32_e32 v54, 2, v0
	buffer_store_dword v14, off, s[0:3], 0
	buffer_store_dword v14, off, s[0:3], 0 offset:4
	buffer_store_dword v14, off, s[0:3], 0 offset:8
	;; [unrolled: 1-line block ×3, first 2 shown]
	s_and_saveexec_b64 s[14:15], vcc
	s_cbranch_execz .LBB19_13
; %bb.3:
	v_or_b32_e32 v2, s33, v1
	v_cmp_le_i32_e32 vcc, s22, v2
	v_add_u32_e32 v3, v52, v54
	s_and_saveexec_b64 s[8:9], vcc
	s_xor_b64 s[8:9], exec, s[8:9]
	s_cbranch_execz .LBB19_7
; %bb.4:
	v_cmp_gt_u32_e32 vcc, 4, v0
	v_mov_b32_e32 v2, 0
	ds_write_b32 v3, v2
	s_and_saveexec_b64 s[10:11], vcc
; %bb.5:
	v_add_u32_e32 v4, v3, v54
	v_mov_b32_e32 v3, v2
	ds_write_b64 v4, v[2:3] offset:128
; %bb.6:
	s_or_b64 exec, exec, s[10:11]
                                        ; implicit-def: $vgpr3
.LBB19_7:
	s_andn2_saveexec_b64 s[8:9], s[8:9]
	s_cbranch_execz .LBB19_13
; %bb.8:
	s_load_dwordx4 s[8:11], s[4:5], 0x70
	s_waitcnt lgkmcnt(0)
	s_mul_i32 s10, s54, s10
	s_mul_i32 s11, s8, s33
	;; [unrolled: 1-line block ×3, first 2 shown]
	v_mul_lo_u32 v2, s8, v1
	s_add_i32 s8, s10, s11
	s_add_i32 s8, s8, s9
	s_ashr_i32 s9, s8, 31
	s_add_u32 s8, s36, s8
	s_addc_u32 s9, s37, s9
	v_ashrrev_i32_e32 v4, 31, v2
	v_mov_b32_e32 v5, s9
	v_add_co_u32_e32 v2, vcc, s8, v2
	v_addc_co_u32_e32 v5, vcc, v5, v4, vcc
	v_lshlrev_b32_e32 v4, 2, v54
	v_add_co_u32_e32 v4, vcc, v2, v4
	v_addc_co_u32_e32 v5, vcc, 0, v5, vcc
	global_load_dwordx4 v[10:13], v[4:5], off
	v_mbcnt_lo_u32_b32 v2, -1, 0
	v_mbcnt_hi_u32_b32 v2, -1, v2
	v_and_b32_e32 v4, 0x60, v2
	v_xor_b32_e32 v5, 4, v2
	v_add_u32_e32 v6, 32, v4
	v_cmp_lt_i32_e32 vcc, v5, v6
	v_cndmask_b32_e32 v4, v2, v5, vcc
	v_lshlrev_b32_e32 v8, 2, v4
	v_xor_b32_e32 v16, 2, v2
	v_cmp_lt_i32_e32 vcc, v16, v6
	v_cndmask_b32_e32 v16, v2, v16, vcc
	v_lshlrev_b32_e32 v16, 2, v16
	v_xor_b32_e32 v17, 1, v2
	v_cmp_lt_i32_e32 vcc, v17, v6
	v_cndmask_b32_e32 v2, v2, v17, vcc
	v_lshlrev_b32_e32 v2, 2, v2
	s_mov_b32 s10, 0x42fe0000
	s_waitcnt vmcnt(0)
	v_mul_f32_e32 v9, s12, v10
	v_mul_f32_e32 v7, s12, v11
	;; [unrolled: 1-line block ×4, first 2 shown]
	v_max_f32_e64 v11, |v9|, |v7|
	v_max3_f32 v11, v11, |v5|, |v4|
	ds_bpermute_b32 v15, v8, v11
	v_fma_f32 v10, s12, v10, v7
	v_fmac_f32_e32 v10, s12, v12
	v_fmac_f32_e32 v10, s12, v13
	s_waitcnt lgkmcnt(0)
	v_max_f32_e32 v15, v15, v15
	v_max_f32_e32 v11, v11, v15
	ds_bpermute_b32 v15, v16, v11
	s_waitcnt lgkmcnt(0)
	v_max_f32_e32 v6, v15, v15
	v_max_f32_e32 v6, v11, v6
	ds_bpermute_b32 v11, v2, v6
	s_waitcnt lgkmcnt(0)
	v_max_f32_e32 v11, v11, v11
	v_max_f32_e32 v11, v6, v11
	v_div_scale_f32 v6, s[8:9], s10, s10, v11
	v_div_scale_f32 v15, vcc, v11, s10, v11
	v_rcp_f32_e32 v17, v6
	v_fma_f32 v12, -v6, v17, 1.0
	v_fmac_f32_e32 v17, v12, v17
	v_mul_f32_e32 v12, v15, v17
	v_fma_f32 v13, -v6, v12, v15
	v_fmac_f32_e32 v12, v13, v17
	v_fma_f32 v6, -v6, v12, v15
	v_div_fmas_f32 v12, v6, v17, v12
	ds_bpermute_b32 v6, v8, v10
	s_waitcnt lgkmcnt(0)
	v_add_f32_e32 v6, v10, v6
	ds_bpermute_b32 v8, v16, v6
	v_mov_b32_e32 v10, 0
	s_waitcnt lgkmcnt(0)
	v_add_f32_e32 v6, v6, v8
	ds_bpermute_b32 v8, v2, v6
	v_div_fixup_f32 v2, v12, s10, v11
	v_cmp_neq_f32_e32 vcc, 0, v2
	s_and_saveexec_b64 s[16:17], vcc
	s_cbranch_execz .LBB19_10
; %bb.9:
	v_div_scale_f32 v10, s[8:9], v2, v2, v9
	v_div_scale_f32 v13, vcc, v9, v2, v9
	v_div_scale_f32 v11, s[8:9], v2, v2, v7
	v_div_scale_f32 v12, s[8:9], v2, v2, v5
	;; [unrolled: 1-line block ×5, first 2 shown]
	s_brev_b32 s25, -2
	v_rcp_f32_e32 v17, v10
	v_rcp_f32_e32 v19, v11
	v_fma_f32 v21, -v10, v17, 1.0
	v_fmac_f32_e32 v17, v21, v17
	v_mul_f32_e32 v21, v13, v17
	v_fma_f32 v22, -v10, v21, v13
	v_fmac_f32_e32 v21, v22, v17
	v_fma_f32 v10, -v10, v21, v13
	v_div_fmas_f32 v10, v10, v17, v21
	v_div_scale_f32 v13, s[12:13], v4, v2, v4
	v_fma_f32 v17, -v11, v19, 1.0
	v_fmac_f32_e32 v19, v17, v19
	v_mul_f32_e32 v17, v15, v19
	v_fma_f32 v22, -v11, v17, v15
	v_fmac_f32_e32 v17, v22, v19
	v_rcp_f32_e32 v20, v12
	v_fma_f32 v11, -v11, v17, v15
	s_mov_b64 vcc, s[8:9]
	v_div_fmas_f32 v11, v11, v19, v17
	v_fma_f32 v21, -v12, v20, 1.0
	v_fmac_f32_e32 v20, v21, v20
	v_mul_f32_e32 v21, v16, v20
	v_fma_f32 v23, -v12, v21, v16
	v_div_fixup_f32 v9, v10, v2, v9
	v_trunc_f32_e32 v10, v9
	v_sub_f32_e32 v15, v9, v10
	v_cmp_ge_f32_e64 s[8:9], |v15|, 0.5
	v_cndmask_b32_e64 v15, 0, 1.0, s[8:9]
	v_bfi_b32 v9, s25, v15, v9
	v_add_f32_e32 v9, v10, v9
	v_rcp_f32_e32 v10, v18
	v_fmac_f32_e32 v21, v23, v20
	v_fma_f32 v12, -v12, v21, v16
	s_mov_b64 vcc, s[10:11]
	v_fma_f32 v15, -v18, v10, 1.0
	v_fmac_f32_e32 v10, v15, v10
	v_div_fmas_f32 v12, v12, v20, v21
	v_mul_f32_e32 v15, v13, v10
	v_fma_f32 v16, -v18, v15, v13
	v_fmac_f32_e32 v15, v16, v10
	v_fma_f32 v13, -v18, v15, v13
	s_mov_b64 vcc, s[12:13]
	v_div_fmas_f32 v10, v13, v10, v15
	v_div_fixup_f32 v7, v11, v2, v7
	v_trunc_f32_e32 v11, v7
	v_sub_f32_e32 v13, v7, v11
	v_cmp_ge_f32_e64 s[8:9], |v13|, 0.5
	v_cndmask_b32_e64 v13, 0, 1.0, s[8:9]
	v_bfi_b32 v7, s25, v13, v7
	v_add_f32_e32 v7, v11, v7
	v_cvt_i32_f32_e32 v9, v9
	v_cvt_i32_f32_e32 v7, v7
	v_div_fixup_f32 v5, v12, v2, v5
	v_trunc_f32_e32 v11, v5
	v_sub_f32_e32 v12, v5, v11
	v_cmp_ge_f32_e64 s[8:9], |v12|, 0.5
	v_cndmask_b32_e64 v12, 0, 1.0, s[8:9]
	v_bfi_b32 v5, s25, v12, v5
	v_div_fixup_f32 v4, v10, v2, v4
	v_trunc_f32_e32 v10, v4
	v_add_f32_e32 v5, v11, v5
	v_sub_f32_e32 v11, v4, v10
	v_cmp_ge_f32_e64 s[8:9], |v11|, 0.5
	v_cndmask_b32_e64 v11, 0, 1.0, s[8:9]
	v_cvt_i32_f32_e32 v5, v5
	v_bfi_b32 v4, s25, v11, v4
	v_add_f32_e32 v4, v10, v4
	v_cvt_i32_f32_e32 v4, v4
	v_and_b32_e32 v5, 0xff, v5
	v_lshlrev_b32_e32 v5, 16, v5
	v_lshl_or_b32 v4, v4, 24, v5
	v_mov_b32_e32 v5, 8
	v_lshlrev_b32_sdwa v5, v5, v7 dst_sel:DWORD dst_unused:UNUSED_PAD src0_sel:DWORD src1_sel:BYTE_0
	v_and_b32_e32 v7, 0xff, v9
	v_or3_b32 v10, v4, v5, v7
.LBB19_10:
	s_or_b64 exec, exec, s[16:17]
	v_and_b32_e32 v4, 7, v0
	v_cmp_eq_u32_e32 vcc, 0, v4
	ds_write_b32 v3, v10
	s_and_saveexec_b64 s[8:9], vcc
	s_cbranch_execz .LBB19_12
; %bb.11:
	s_waitcnt lgkmcnt(1)
	v_add_f32_e32 v3, v6, v8
	v_add_u32_e32 v4, v52, v0
	ds_write_b64 v4, v[2:3] offset:128
.LBB19_12:
	s_or_b64 exec, exec, s[8:9]
.LBB19_13:
	s_or_b64 exec, exec, s[14:15]
	v_and_b32_e32 v18, 3, v0
	v_lshlrev_b32_e32 v2, 2, v18
	s_waitcnt vmcnt(0) lgkmcnt(0)
	s_barrier
	ds_read2_b32 v[34:35], v2 offset1:4
	ds_read2_b32 v[36:37], v2 offset0:8 offset1:12
	ds_read2_b32 v[38:39], v2 offset0:16 offset1:20
	ds_read2_b32 v[40:41], v2 offset0:24 offset1:28
	ds_read2_b32 v[42:43], v2 offset0:64 offset1:68
	ds_read2_b32 v[44:45], v2 offset0:72 offset1:76
	ds_read2_b32 v[46:47], v2 offset0:80 offset1:84
	ds_read2_b32 v[48:49], v2 offset0:88 offset1:92
	ds_read_b128 v[2:5], v14 offset:128
	ds_read_b128 v[6:9], v14 offset:144
	ds_read_b128 v[10:13], v14 offset:384
	ds_read_b128 v[14:17], v14 offset:400
	s_cmp_eq_u64 s[46:47], 0
	s_mov_b32 s25, s52
	s_waitcnt lgkmcnt(0)
	s_barrier
	s_cbranch_scc1 .LBB19_15
; %bb.14:
	s_load_dword s8, s[4:5], 0xd0
	s_mov_b32 s9, 0
	s_waitcnt lgkmcnt(0)
	s_mul_i32 s8, s8, s54
	s_add_i32 s8, s8, s6
	s_lshl_b64 s[8:9], s[8:9], 2
	s_add_u32 s8, s46, s8
	s_addc_u32 s9, s47, s9
	s_load_dword s25, s[8:9], 0x0
.LBB19_15:
	v_lshlrev_b32_e32 v22, 5, v1
	v_add_u32_e32 v53, v22, v0
	s_lshl_b32 s26, s7, 7
	s_mov_b32 s27, 0
	s_waitcnt lgkmcnt(0)
	s_cmp_ge_i32 s26, s25
	v_mbcnt_lo_u32_b32 v57, -1, 0
	v_lshlrev_b32_e32 v55, 1, v53
	s_cbranch_scc1 .LBB19_35
; %bb.16:
	s_sub_i32 s6, 0, s30
	s_sub_i32 s8, 0, s28
	s_mul_i32 s6, s6, s19
	s_mul_i32 s8, s8, s18
	s_mul_hi_u32 s6, s19, s6
	s_mul_hi_u32 s8, s18, s8
	s_abs_i32 s10, s24
	s_add_i32 s19, s19, s6
	s_abs_i32 s6, s54
	s_add_i32 s18, s18, s8
	s_mul_hi_u32 s11, s10, s19
	s_mul_hi_u32 s12, s6, s18
	s_load_dwordx2 s[46:47], s[4:5], 0x8c
	s_load_dwordx4 s[16:19], s[4:5], 0x98
	s_ashr_i32 s13, s24, 31
	s_ashr_i32 s14, s31, 31
	;; [unrolled: 1-line block ×3, first 2 shown]
	s_xor_b32 s13, s13, s14
	s_waitcnt lgkmcnt(0)
	s_mul_hi_u32 s15, s16, s54
	s_mul_i32 s31, s16, s60
	s_mul_i32 s14, s11, s30
	s_add_i32 s53, s15, s31
	s_mul_i32 s15, s17, s54
	s_sub_i32 s10, s10, s14
	s_add_i32 s53, s53, s15
	s_add_i32 s14, s11, 1
	s_sub_i32 s15, s10, s30
	s_cmp_ge_u32 s10, s30
	s_cselect_b32 s11, s14, s11
	s_cselect_b32 s10, s15, s10
	s_add_i32 s14, s11, 1
	s_cmp_ge_u32 s10, s30
	s_cselect_b32 s10, s14, s11
	s_xor_b32 s10, s10, s13
	s_sub_i32 s55, s10, s13
	s_mul_i32 s12, s12, s28
	s_mul_i32 s58, s55, s47
	s_mul_i32 s55, s55, s19
	s_sub_i32 s6, s6, s12
	s_ashr_i32 s59, s58, 31
	s_ashr_i32 s57, s55, 31
	s_sub_i32 s10, s6, s28
	s_cmp_ge_u32 s6, s28
	s_cselect_b32 s6, s10, s6
	s_sub_i32 s10, s6, s28
	s_load_dwordx2 s[8:9], s[4:5], 0xc8
	s_cmp_ge_u32 s6, s28
	s_cselect_b32 s6, s10, s6
	s_xor_b32 s6, s6, s60
	s_sub_i32 s6, s6, s60
	s_ashr_i32 s10, s6, 31
	s_mul_i32 s56, s16, s54
	s_load_dword s12, s[4:5], 0xd4
	s_load_dwordx2 s[16:17], s[4:5], 0xa8
	s_waitcnt lgkmcnt(0)
	s_mul_i32 s10, s8, s10
	s_mul_hi_u32 s11, s8, s6
	s_add_i32 s10, s11, s10
	s_mul_i32 s9, s9, s6
	s_mul_i32 s61, s8, s6
	;; [unrolled: 1-line block ×3, first 2 shown]
	s_add_i32 s19, s10, s9
	s_ashr_i32 s47, s6, 31
	s_cmp_lg_u64 s[42:43], 0
	v_and_b32_e32 v19, 0x7c, v0
	v_mbcnt_hi_u32_b32 v28, -1, v57
	s_cselect_b64 s[10:11], -1, 0
	s_lshl_b32 s28, s12, 7
	v_add_u32_e32 v23, v22, v19
	v_and_b32_e32 v19, 0x7c, v28
	s_cmp_lt_i32 s33, s22
	v_add_u32_e32 v19, 4, v19
	v_xor_b32_e32 v20, 2, v28
	s_cselect_b64 s[12:13], -1, 0
	v_cmp_lt_i32_e32 vcc, v20, v19
	s_and_b64 s[30:31], s[10:11], s[12:13]
	s_or_b32 s12, s33, 1
	v_cndmask_b32_e32 v24, v28, v20, vcc
	v_xor_b32_e32 v20, 1, v28
	s_cmp_lt_i32 s12, s22
	v_cmp_lt_i32_e32 vcc, v20, v19
	v_and_b32_e32 v19, 0x60, v28
	s_cselect_b64 s[12:13], -1, 0
	v_add_u32_e32 v29, 32, v19
	v_cmp_eq_u32_e64 s[8:9], 0, v18
	s_and_b64 s[34:35], s[10:11], s[12:13]
	v_cmp_eq_u32_e64 s[10:11], 1, v18
	v_cmp_eq_u32_e64 s[12:13], 2, v18
	;; [unrolled: 1-line block ×3, first 2 shown]
	v_xor_b32_e32 v18, 4, v28
	v_cndmask_b32_e32 v25, v28, v20, vcc
	v_cmp_lt_i32_e32 vcc, v18, v29
	v_cndmask_b32_e32 v26, v28, v18, vcc
	v_xor_b32_e32 v18, 8, v28
	v_cmp_lt_i32_e32 vcc, v18, v29
	v_cndmask_b32_e32 v27, v28, v18, vcc
	v_xor_b32_e32 v18, 16, v28
	v_mul_lo_u32 v51, v23, s46
	v_cmp_lt_i32_e32 vcc, v18, v29
	s_ashr_i32 s36, s52, 31
	v_add_u32_e32 v19, s52, v23
	v_cndmask_b32_e32 v28, v28, v18, vcc
	v_add_co_u32_e32 v31, vcc, s52, v23
	s_add_u32 s52, s38, s58
	s_addc_u32 s64, s39, s59
	s_lshl_b64 s[62:63], s[26:27], 1
	s_mov_b32 s29, s27
	v_mov_b32_e32 v18, s36
	s_add_u32 s27, s42, s62
	v_and_b32_e32 v21, 12, v54
	v_add_u32_e32 v74, s46, v51
	v_addc_co_u32_e32 v32, vcc, 0, v18, vcc
	s_addc_u32 s36, s43, s63
	v_add_u32_e32 v68, s46, v74
	v_mov_b32_e32 v18, s53
	v_add_co_u32_e32 v21, vcc, s56, v21
	s_add_u32 s27, s27, s61
	v_add_u32_e32 v62, s46, v68
	v_addc_co_u32_e32 v76, vcc, 0, v18, vcc
	s_addc_u32 s65, s36, s19
	s_lshl_b64 s[36:37], s[28:29], 1
	v_ashrrev_i32_e32 v63, 31, v62
	v_add_co_u32_e32 v18, vcc, v21, v62
	s_add_u32 s29, s61, s62
	v_ashrrev_i32_e32 v20, 31, v19
	v_addc_co_u32_e32 v59, vcc, v76, v63, vcc
	s_addc_u32 s61, s19, s63
	v_mov_b32_e32 v60, s64
	v_add_co_u32_e32 v58, vcc, s52, v18
	v_lshlrev_b64 v[18:19], 1, v[19:20]
	s_add_u32 s19, s42, s29
	v_addc_co_u32_e32 v59, vcc, v60, v59, vcc
	s_addc_u32 s42, s43, s61
	v_mov_b32_e32 v20, s65
	v_add_co_u32_e32 v60, vcc, s27, v18
	s_add_u32 s29, s52, s56
	v_addc_co_u32_e32 v61, vcc, v20, v19, vcc
	s_addc_u32 s43, s64, s53
	v_mov_b32_e32 v18, s43
	v_add_co_u32_e32 v62, vcc, s29, v62
	v_addc_co_u32_e32 v63, vcc, v18, v63, vcc
	v_ashrrev_i32_e32 v69, 31, v68
	v_add_co_u32_e32 v18, vcc, v21, v68
	v_addc_co_u32_e32 v19, vcc, v76, v69, vcc
	v_mov_b32_e32 v20, s64
	v_add_co_u32_e32 v64, vcc, s52, v18
	v_addc_co_u32_e32 v65, vcc, v20, v19, vcc
	v_lshlrev_b64 v[18:19], 1, v[31:32]
	v_mov_b32_e32 v20, s65
	v_add_co_u32_e32 v66, vcc, s27, v18
	v_addc_co_u32_e32 v67, vcc, v20, v19, vcc
	v_mov_b32_e32 v18, s43
	v_add_co_u32_e32 v68, vcc, s29, v68
	v_addc_co_u32_e32 v69, vcc, v18, v69, vcc
	v_ashrrev_i32_e32 v75, 31, v74
	v_add_co_u32_e32 v18, vcc, v21, v74
	v_addc_co_u32_e32 v19, vcc, v76, v75, vcc
	v_bfe_u32 v33, v0, 3, 27
	v_mov_b32_e32 v20, s64
	v_add_co_u32_e32 v70, vcc, s52, v18
	v_addc_co_u32_e32 v71, vcc, v20, v19, vcc
	v_mul_hi_u32_u24_e32 v19, 34, v33
	v_mul_u32_u24_e32 v18, 34, v33
	v_mov_b32_e32 v20, s54
	v_mul_lo_u32 v78, v22, s18
	v_mad_u64_u32 v[18:19], s[62:63], s16, v20, v[18:19]
	s_mul_i32 s17, s17, s54
	s_mul_i32 s16, s16, s60
	s_add_i32 s16, s16, s17
	v_ashrrev_i32_e32 v79, 31, v78
	v_add_u32_e32 v19, s16, v19
	v_add_co_u32_e32 v20, vcc, v18, v78
	s_add_u32 s16, s40, s55
	v_addc_co_u32_e32 v31, vcc, v19, v79, vcc
	s_addc_u32 s17, s41, s57
	v_mov_b32_e32 v32, s17
	v_add_co_u32_e32 v72, vcc, s16, v20
	v_addc_co_u32_e32 v73, vcc, v32, v31, vcc
	v_mov_b32_e32 v20, s43
	v_add_co_u32_e32 v74, vcc, s29, v74
	v_addc_co_u32_e32 v75, vcc, v20, v75, vcc
	v_mov_b32_e32 v20, s59
	v_add_co_u32_e32 v21, vcc, s58, v21
	v_addc_co_u32_e32 v20, vcc, v76, v20, vcc
	v_ashrrev_i32_e32 v82, 31, v51
	v_add_co_u32_e32 v21, vcc, v21, v51
	v_addc_co_u32_e32 v20, vcc, v20, v82, vcc
	v_mov_b32_e32 v31, s39
	v_add_co_u32_e32 v76, vcc, s38, v21
	v_and_b32_e32 v50, 28, v54
	v_addc_co_u32_e32 v77, vcc, v31, v20, vcc
	v_add_co_u32_e32 v20, vcc, v18, v50
	v_addc_co_u32_e32 v21, vcc, 0, v19, vcc
	v_add_co_u32_e32 v31, vcc, v20, v78
	v_addc_co_u32_e32 v32, vcc, v21, v79, vcc
	v_add_u32_e32 v29, s18, v78
	v_mov_b32_e32 v33, s17
	v_add_co_u32_e32 v78, vcc, s16, v31
	v_addc_co_u32_e32 v79, vcc, v33, v32, vcc
	v_mov_b32_e32 v31, s57
	v_add_co_u32_e32 v33, vcc, s55, v18
	v_addc_co_u32_e32 v50, vcc, v19, v31, vcc
	v_ashrrev_i32_e32 v30, 31, v29
	v_add_co_u32_e32 v18, vcc, v33, v29
	s_add_u32 s16, s56, s58
	v_addc_co_u32_e32 v19, vcc, v50, v30, vcc
	s_addc_u32 s17, s53, s59
	v_mov_b32_e32 v31, s41
	v_add_co_u32_e32 v80, vcc, s40, v18
	s_add_u32 s16, s38, s16
	v_addc_co_u32_e32 v81, vcc, v31, v19, vcc
	s_addc_u32 s17, s39, s17
	v_add_u32_e32 v19, 31, v22
	v_mov_b32_e32 v18, s17
	v_add_co_u32_e32 v31, vcc, s16, v51
	v_mul_lo_u32 v19, s18, v19
	v_addc_co_u32_e32 v32, vcc, v18, v82, vcc
	v_mov_b32_e32 v18, s57
	v_add_co_u32_e32 v51, vcc, s55, v20
	v_addc_co_u32_e32 v100, vcc, v21, v18, vcc
	v_ashrrev_i32_e32 v18, 31, v19
	v_add_co_u32_e32 v20, vcc, v51, v19
	v_addc_co_u32_e32 v21, vcc, v100, v18, vcc
	v_mov_b32_e32 v83, s41
	v_add_co_u32_e32 v82, vcc, s40, v20
	v_addc_co_u32_e32 v83, vcc, v83, v21, vcc
	v_add_u32_e32 v21, 30, v22
	v_add_co_u32_e32 v19, vcc, v33, v19
	v_mul_lo_u32 v21, s18, v21
	v_addc_co_u32_e32 v18, vcc, v50, v18, vcc
	v_mov_b32_e32 v20, s41
	v_add_co_u32_e32 v84, vcc, s40, v19
	v_addc_co_u32_e32 v85, vcc, v20, v18, vcc
	v_ashrrev_i32_e32 v18, 31, v21
	v_add_co_u32_e32 v19, vcc, v51, v21
	v_addc_co_u32_e32 v20, vcc, v100, v18, vcc
	v_mov_b32_e32 v87, s41
	v_add_co_u32_e32 v86, vcc, s40, v19
	v_addc_co_u32_e32 v87, vcc, v87, v20, vcc
	v_add_co_u32_e32 v19, vcc, v33, v21
	v_add_u32_e32 v21, 29, v22
	v_mul_lo_u32 v21, s18, v21
	v_addc_co_u32_e32 v18, vcc, v50, v18, vcc
	v_mov_b32_e32 v20, s41
	v_add_co_u32_e32 v88, vcc, s40, v19
	v_addc_co_u32_e32 v89, vcc, v20, v18, vcc
	v_ashrrev_i32_e32 v18, 31, v21
	v_add_co_u32_e32 v19, vcc, v51, v21
	v_addc_co_u32_e32 v20, vcc, v100, v18, vcc
	v_mov_b32_e32 v91, s41
	v_add_co_u32_e32 v90, vcc, s40, v19
	v_addc_co_u32_e32 v91, vcc, v91, v20, vcc
	v_add_co_u32_e32 v19, vcc, v33, v21
	v_add_u32_e32 v21, 28, v22
	;; [unrolled: 13-line block ×8, first 2 shown]
	v_mul_lo_u32 v21, s18, v21
	v_addc_co_u32_e32 v18, vcc, v50, v18, vcc
	v_mov_b32_e32 v20, s41
	v_add_co_u32_e32 v118, vcc, s40, v19
	v_addc_co_u32_e32 v119, vcc, v20, v18, vcc
	v_ashrrev_i32_e32 v18, 31, v21
	v_add_co_u32_e32 v19, vcc, v51, v21
	v_addc_co_u32_e32 v20, vcc, v100, v18, vcc
	v_add_co_u32_e32 v120, vcc, s40, v19
	v_addc_co_u32_e32 v121, vcc, v115, v20, vcc
	v_add_co_u32_e32 v19, vcc, v33, v21
	v_add_u32_e32 v21, 21, v22
	v_mul_lo_u32 v21, s18, v21
	v_addc_co_u32_e32 v18, vcc, v50, v18, vcc
	v_mov_b32_e32 v20, s41
	v_add_co_u32_e32 v122, vcc, s40, v19
	v_addc_co_u32_e32 v123, vcc, v20, v18, vcc
	v_ashrrev_i32_e32 v18, 31, v21
	v_add_co_u32_e32 v19, vcc, v51, v21
	v_addc_co_u32_e32 v20, vcc, v100, v18, vcc
	v_add_co_u32_e32 v124, vcc, s40, v19
	v_addc_co_u32_e32 v125, vcc, v115, v20, vcc
	v_add_co_u32_e32 v19, vcc, v33, v21
	v_add_u32_e32 v21, 20, v22
	;; [unrolled: 12-line block ×3, first 2 shown]
	v_mul_lo_u32 v21, s18, v21
	v_addc_co_u32_e32 v18, vcc, v50, v18, vcc
	v_mov_b32_e32 v20, s41
	v_add_co_u32_e32 v130, vcc, s40, v19
	v_addc_co_u32_e32 v131, vcc, v20, v18, vcc
	v_ashrrev_i32_e32 v18, 31, v21
	v_add_co_u32_e32 v19, vcc, v51, v21
	v_addc_co_u32_e32 v20, vcc, v100, v18, vcc
	v_add_co_u32_e32 v132, vcc, s40, v19
	v_addc_co_u32_e32 v133, vcc, v115, v20, vcc
	;; [unrolled: 2-line block ×3, first 2 shown]
	v_add_u32_e32 v115, s18, v29
	v_mov_b32_e32 v20, s41
	v_add_co_u32_e32 v134, vcc, s40, v19
	v_add_u32_e32 v198, s18, v115
	v_addc_co_u32_e32 v135, vcc, v20, v18, vcc
	v_add_u32_e32 v18, s18, v198
	v_add_u32_e32 v19, s18, v18
	;; [unrolled: 1-line block ×15, first 2 shown]
	v_ashrrev_i32_e32 v139, 31, v138
	v_add_co_u32_e32 v136, vcc, v51, v138
	v_addc_co_u32_e32 v137, vcc, v100, v139, vcc
	v_mov_b32_e32 v140, s41
	v_add_co_u32_e32 v136, vcc, s40, v136
	v_addc_co_u32_e32 v137, vcc, v140, v137, vcc
	v_add_co_u32_e32 v138, vcc, v33, v138
	v_addc_co_u32_e32 v139, vcc, v50, v139, vcc
	v_add_co_u32_e32 v138, vcc, s40, v138
	v_addc_co_u32_e32 v139, vcc, v140, v139, vcc
	v_ashrrev_i32_e32 v143, 31, v142
	v_add_co_u32_e32 v140, vcc, v51, v142
	v_addc_co_u32_e32 v141, vcc, v100, v143, vcc
	v_mov_b32_e32 v144, s41
	v_add_co_u32_e32 v140, vcc, s40, v140
	v_addc_co_u32_e32 v141, vcc, v144, v141, vcc
	v_add_co_u32_e32 v142, vcc, v33, v142
	v_addc_co_u32_e32 v143, vcc, v50, v143, vcc
	v_add_co_u32_e32 v142, vcc, s40, v142
	v_addc_co_u32_e32 v143, vcc, v144, v143, vcc
	v_ashrrev_i32_e32 v147, 31, v146
	v_add_co_u32_e32 v144, vcc, v51, v146
	v_addc_co_u32_e32 v145, vcc, v100, v147, vcc
	v_mov_b32_e32 v148, s41
	v_add_co_u32_e32 v144, vcc, s40, v144
	v_addc_co_u32_e32 v145, vcc, v148, v145, vcc
	v_add_co_u32_e32 v146, vcc, v33, v146
	v_addc_co_u32_e32 v147, vcc, v50, v147, vcc
	v_add_co_u32_e32 v146, vcc, s40, v146
	v_addc_co_u32_e32 v147, vcc, v148, v147, vcc
	v_ashrrev_i32_e32 v151, 31, v150
	v_add_co_u32_e32 v148, vcc, v51, v150
	v_addc_co_u32_e32 v149, vcc, v100, v151, vcc
	v_mov_b32_e32 v152, s41
	v_add_co_u32_e32 v148, vcc, s40, v148
	v_addc_co_u32_e32 v149, vcc, v152, v149, vcc
	v_add_co_u32_e32 v150, vcc, v33, v150
	v_addc_co_u32_e32 v151, vcc, v50, v151, vcc
	v_add_co_u32_e32 v150, vcc, s40, v150
	v_addc_co_u32_e32 v151, vcc, v152, v151, vcc
	v_ashrrev_i32_e32 v155, 31, v154
	v_add_co_u32_e32 v152, vcc, v51, v154
	v_addc_co_u32_e32 v153, vcc, v100, v155, vcc
	v_mov_b32_e32 v156, s41
	v_add_co_u32_e32 v152, vcc, s40, v152
	v_addc_co_u32_e32 v153, vcc, v156, v153, vcc
	v_add_co_u32_e32 v154, vcc, v33, v154
	v_addc_co_u32_e32 v155, vcc, v50, v155, vcc
	v_add_co_u32_e32 v154, vcc, s40, v154
	v_addc_co_u32_e32 v155, vcc, v156, v155, vcc
	v_ashrrev_i32_e32 v159, 31, v158
	v_add_co_u32_e32 v156, vcc, v51, v158
	v_addc_co_u32_e32 v157, vcc, v100, v159, vcc
	v_mov_b32_e32 v160, s41
	v_add_co_u32_e32 v156, vcc, s40, v156
	v_addc_co_u32_e32 v157, vcc, v160, v157, vcc
	v_add_co_u32_e32 v158, vcc, v33, v158
	v_addc_co_u32_e32 v159, vcc, v50, v159, vcc
	v_add_co_u32_e32 v158, vcc, s40, v158
	v_addc_co_u32_e32 v159, vcc, v160, v159, vcc
	v_ashrrev_i32_e32 v163, 31, v162
	v_add_co_u32_e32 v160, vcc, v51, v162
	v_addc_co_u32_e32 v161, vcc, v100, v163, vcc
	v_mov_b32_e32 v164, s41
	v_add_co_u32_e32 v160, vcc, s40, v160
	v_addc_co_u32_e32 v161, vcc, v164, v161, vcc
	v_add_co_u32_e32 v162, vcc, v33, v162
	v_addc_co_u32_e32 v163, vcc, v50, v163, vcc
	v_add_co_u32_e32 v162, vcc, s40, v162
	v_addc_co_u32_e32 v163, vcc, v164, v163, vcc
	v_ashrrev_i32_e32 v167, 31, v166
	v_add_co_u32_e32 v164, vcc, v51, v166
	v_addc_co_u32_e32 v165, vcc, v100, v167, vcc
	v_mov_b32_e32 v168, s41
	v_add_co_u32_e32 v164, vcc, s40, v164
	v_addc_co_u32_e32 v165, vcc, v168, v165, vcc
	v_add_co_u32_e32 v166, vcc, v33, v166
	v_addc_co_u32_e32 v167, vcc, v50, v167, vcc
	v_add_co_u32_e32 v166, vcc, s40, v166
	v_addc_co_u32_e32 v167, vcc, v168, v167, vcc
	v_ashrrev_i32_e32 v171, 31, v170
	v_add_co_u32_e32 v168, vcc, v51, v170
	v_addc_co_u32_e32 v169, vcc, v100, v171, vcc
	v_mov_b32_e32 v172, s41
	v_add_co_u32_e32 v168, vcc, s40, v168
	v_addc_co_u32_e32 v169, vcc, v172, v169, vcc
	v_add_co_u32_e32 v170, vcc, v33, v170
	v_addc_co_u32_e32 v171, vcc, v50, v171, vcc
	v_add_co_u32_e32 v170, vcc, s40, v170
	v_addc_co_u32_e32 v171, vcc, v172, v171, vcc
	v_ashrrev_i32_e32 v175, 31, v174
	v_add_co_u32_e32 v172, vcc, v51, v174
	v_addc_co_u32_e32 v173, vcc, v100, v175, vcc
	v_mov_b32_e32 v176, s41
	v_add_co_u32_e32 v172, vcc, s40, v172
	v_addc_co_u32_e32 v173, vcc, v176, v173, vcc
	v_add_co_u32_e32 v174, vcc, v33, v174
	v_addc_co_u32_e32 v175, vcc, v50, v175, vcc
	v_add_co_u32_e32 v174, vcc, s40, v174
	v_addc_co_u32_e32 v175, vcc, v176, v175, vcc
	v_ashrrev_i32_e32 v179, 31, v178
	v_add_co_u32_e32 v176, vcc, v51, v178
	v_addc_co_u32_e32 v177, vcc, v100, v179, vcc
	v_mov_b32_e32 v180, s41
	v_add_co_u32_e32 v176, vcc, s40, v176
	v_addc_co_u32_e32 v177, vcc, v180, v177, vcc
	v_add_co_u32_e32 v178, vcc, v33, v178
	v_addc_co_u32_e32 v179, vcc, v50, v179, vcc
	v_add_co_u32_e32 v178, vcc, s40, v178
	v_addc_co_u32_e32 v179, vcc, v180, v179, vcc
	v_ashrrev_i32_e32 v182, 31, v21
	v_add_co_u32_e32 v180, vcc, v51, v21
	v_addc_co_u32_e32 v181, vcc, v100, v182, vcc
	v_mov_b32_e32 v183, s41
	v_add_co_u32_e32 v180, vcc, s40, v180
	v_addc_co_u32_e32 v181, vcc, v183, v181, vcc
	v_add_co_u32_e32 v21, vcc, v33, v21
	v_addc_co_u32_e32 v183, vcc, v50, v182, vcc
	v_mov_b32_e32 v184, s41
	v_add_co_u32_e32 v182, vcc, s40, v21
	v_addc_co_u32_e32 v183, vcc, v184, v183, vcc
	v_ashrrev_i32_e32 v21, 31, v20
	v_add_co_u32_e32 v184, vcc, v51, v20
	v_addc_co_u32_e32 v185, vcc, v100, v21, vcc
	v_mov_b32_e32 v186, s41
	v_add_co_u32_e32 v184, vcc, s40, v184
	v_addc_co_u32_e32 v185, vcc, v186, v185, vcc
	v_add_co_u32_e32 v20, vcc, v33, v20
	v_addc_co_u32_e32 v21, vcc, v50, v21, vcc
	v_mov_b32_e32 v187, s41
	v_add_co_u32_e32 v186, vcc, s40, v20
	v_addc_co_u32_e32 v187, vcc, v187, v21, vcc
	v_ashrrev_i32_e32 v20, 31, v19
	v_add_co_u32_e32 v21, vcc, v51, v19
	v_addc_co_u32_e32 v189, vcc, v100, v20, vcc
	v_mov_b32_e32 v190, s41
	v_add_co_u32_e32 v188, vcc, s40, v21
	v_addc_co_u32_e32 v189, vcc, v190, v189, vcc
	v_add_co_u32_e32 v19, vcc, v33, v19
	v_addc_co_u32_e32 v20, vcc, v50, v20, vcc
	v_mov_b32_e32 v21, s41
	v_add_co_u32_e32 v190, vcc, s40, v19
	v_addc_co_u32_e32 v191, vcc, v21, v20, vcc
	v_ashrrev_i32_e32 v19, 31, v18
	v_add_co_u32_e32 v20, vcc, v51, v18
	v_addc_co_u32_e32 v21, vcc, v100, v19, vcc
	v_mov_b32_e32 v193, s41
	v_add_co_u32_e32 v192, vcc, s40, v20
	v_addc_co_u32_e32 v193, vcc, v193, v21, vcc
	v_add_co_u32_e32 v194, vcc, v33, v18
	v_addc_co_u32_e32 v195, vcc, v50, v19, vcc
	buffer_load_dword v21, off, s[0:3], 0
	buffer_load_dword v20, off, s[0:3], 0 offset:4
	buffer_load_dword v18, off, s[0:3], 0 offset:8
	;; [unrolled: 1-line block ×3, first 2 shown]
	v_mov_b32_e32 v196, s41
	v_add_co_u32_e32 v194, vcc, s40, v194
	v_addc_co_u32_e32 v195, vcc, v196, v195, vcc
	v_ashrrev_i32_e32 v199, 31, v198
	v_add_co_u32_e32 v196, vcc, v51, v198
	v_addc_co_u32_e32 v197, vcc, v100, v199, vcc
	v_mov_b32_e32 v200, s41
	v_add_co_u32_e32 v196, vcc, s40, v196
	v_addc_co_u32_e32 v197, vcc, v200, v197, vcc
	v_add_co_u32_e32 v198, vcc, v33, v198
	v_addc_co_u32_e32 v199, vcc, v50, v199, vcc
	;; [unrolled: 2-line block ×3, first 2 shown]
	v_ashrrev_i32_e32 v202, 31, v115
	v_add_co_u32_e32 v200, vcc, v51, v115
	v_addc_co_u32_e32 v201, vcc, v100, v202, vcc
	v_mov_b32_e32 v203, s41
	v_add_co_u32_e32 v200, vcc, s40, v200
	v_addc_co_u32_e32 v201, vcc, v203, v201, vcc
	v_add_co_u32_e32 v33, vcc, v33, v115
	v_addc_co_u32_e32 v50, vcc, v50, v202, vcc
	v_mov_b32_e32 v115, s41
	v_add_co_u32_e32 v202, vcc, s40, v33
	v_addc_co_u32_e32 v203, vcc, v115, v50, vcc
	;; [unrolled: 5-line block ×3, first 2 shown]
	v_lshlrev_b32_e32 v211, 1, v22
	v_lshlrev_b32_e32 v22, 1, v23
	v_mov_b32_e32 v23, s42
	v_add_co_u32_e32 v212, vcc, s19, v22
	v_addc_co_u32_e32 v213, vcc, 0, v23, vcc
	v_add_co_u32_e32 v214, vcc, 54, v31
	s_mul_i32 s27, s18, s26
	s_mul_i32 s29, s46, s26
	v_lshlrev_b32_e32 v206, 2, v24
	v_lshlrev_b32_e32 v207, 2, v25
	s_mul_i32 s38, s28, s46
	s_mul_i32 s39, s28, s18
	v_lshlrev_b32_e32 v208, 2, v26
	v_lshlrev_b32_e32 v209, 2, v27
	;; [unrolled: 1-line block ×3, first 2 shown]
	v_addc_co_u32_e32 v215, vcc, 0, v32, vcc
	s_mov_b32 s40, 0x3fb8aa3b
	s_mov_b32 s41, 0xc2ce8ed0
	;; [unrolled: 1-line block ×4, first 2 shown]
	v_mov_b32_e32 v100, 0
	v_mov_b32_e32 v23, 0xfeffffff
	;; [unrolled: 1-line block ×7, first 2 shown]
.LBB19_17:                              ; =>This Inner Loop Header: Depth=1
	v_add_co_u32_e32 v24, vcc, s29, v76
	v_addc_co_u32_e32 v25, vcc, 0, v77, vcc
	global_load_dword v26, v[24:25], off offset:2
	global_load_dword v27, v[24:25], off offset:20
	;; [unrolled: 1-line block ×4, first 2 shown]
	v_add_co_u32_e32 v24, vcc, s29, v214
	v_addc_co_u32_e32 v25, vcc, 0, v215, vcc
	global_load_ushort v32, v[24:25], off offset:-54
	global_load_ushort v33, v[24:25], off offset:-36
	;; [unrolled: 1-line block ×3, first 2 shown]
	global_load_ushort v31, v[24:25], off
	s_and_b64 vcc, exec, s[30:31]
	s_waitcnt vmcnt(7)
	v_and_b32_e32 v51, 0xf0f0f0f, v26
	v_lshrrev_b32_e32 v24, 4, v26
	v_and_b32_e32 v219, 0xf0f0f0f, v24
	v_dot4_i32_i8 v24, v51, v34, 0
	s_waitcnt vmcnt(6)
	v_and_b32_e32 v29, 0xf0f0f0f, v27
	v_lshrrev_b32_e32 v26, 4, v27
	s_waitcnt vmcnt(4)
	v_lshrrev_b32_e32 v220, 4, v30
	v_dot4_i32_i8 v223, v219, v35, 0
	v_cvt_f32_i32_e32 v24, v24
	v_and_b32_e32 v25, 0xf0f0f0f, v30
	v_and_b32_e32 v30, 0xf0f0f0f, v26
	;; [unrolled: 1-line block ×3, first 2 shown]
	v_dot4_i32_i8 v220, v29, v36, 0
	v_cvt_f32_i32_e32 v223, v223
	v_and_b32_e32 v27, 0xf0f0f0f, v28
	v_lshrrev_b32_e32 v28, 4, v28
	v_dot4_i32_i8 v224, v30, v37, 0
	v_cvt_f32_i32_e32 v220, v220
	v_and_b32_e32 v28, 0xf0f0f0f, v28
	v_dot4_i32_i8 v221, v27, v38, 0
	v_cvt_f32_i32_e32 v224, v224
	v_dot4_i32_i8 v225, v28, v39, 0
	v_cvt_f32_i32_e32 v221, v221
	v_fma_f32 v24, v2, v24, -v3
	v_dot4_i32_i8 v222, v25, v40, 0
	v_cvt_f32_i32_e32 v225, v225
	v_fma_f32 v223, v2, v223, -v3
	s_waitcnt vmcnt(3)
	v_fma_mix_f32 v24, v24, v32, 0 op_sel_hi:[0,1,0]
	v_dot4_i32_i8 v226, v26, v41, 0
	v_cvt_f32_i32_e32 v222, v222
	v_fma_f32 v220, v4, v220, -v5
	v_fma_mix_f32 v24, v223, v32, v24 op_sel_hi:[0,1,0]
	v_cvt_f32_i32_e32 v226, v226
	v_fma_f32 v224, v4, v224, -v5
	s_waitcnt vmcnt(2)
	v_fma_mix_f32 v24, v220, v33, v24 op_sel_hi:[0,1,0]
	v_fma_f32 v221, v6, v221, -v7
	v_fma_mix_f32 v24, v224, v33, v24 op_sel_hi:[0,1,0]
	v_fma_f32 v225, v6, v225, -v7
	s_waitcnt vmcnt(1)
	v_fma_mix_f32 v24, v221, v50, v24 op_sel_hi:[0,1,0]
	v_fma_f32 v222, v8, v222, -v9
	v_fma_mix_f32 v24, v225, v50, v24 op_sel_hi:[0,1,0]
	v_fma_f32 v226, v8, v226, -v9
	s_waitcnt vmcnt(0)
	v_fma_mix_f32 v24, v222, v31, v24 op_sel_hi:[0,1,0]
	v_fma_mix_f32 v24, v226, v31, v24 op_sel_hi:[0,1,0]
	ds_bpermute_b32 v220, v206, v24
	s_waitcnt lgkmcnt(0)
	v_add_f32_e32 v24, v24, v220
	ds_bpermute_b32 v220, v207, v24
	s_waitcnt lgkmcnt(0)
	v_add_f32_e32 v24, v24, v220
	s_cbranch_vccz .LBB19_19
; %bb.18:                               ;   in Loop: Header=BB19_17 Depth=1
	v_mov_b32_e32 v221, s47
	v_add_co_u32_e32 v220, vcc, s6, v212
	v_addc_co_u32_e32 v221, vcc, v213, v221, vcc
	global_load_ushort v220, v[220:221], off
	s_waitcnt vmcnt(0)
	v_fma_mix_f32 v24, v56, v220, v24 op_sel_hi:[0,1,0]
.LBB19_19:                              ;   in Loop: Header=BB19_17 Depth=1
	v_dot4_i32_i8 v51, v51, v42, 0
	v_cvt_f32_i32_e32 v51, v51
	v_dot4_i32_i8 v219, v219, v43, 0
	v_cvt_f32_f16_e32 v32, v32
	v_cvt_f32_i32_e32 v219, v219
	v_dot4_i32_i8 v29, v29, v44, 0
	v_cvt_f32_i32_e32 v29, v29
	v_dot4_i32_i8 v30, v30, v45, 0
	v_cvt_f32_f16_e32 v33, v33
	v_cvt_f32_i32_e32 v30, v30
	v_dot4_i32_i8 v27, v27, v46, 0
	v_fma_f32 v51, v10, v51, -v11
	v_cvt_f32_i32_e32 v27, v27
	v_dot4_i32_i8 v28, v28, v47, 0
	v_cvt_f32_f16_e32 v50, v50
	v_fma_f32 v51, v51, v32, 0
	v_fma_f32 v219, v10, v219, -v11
	v_cvt_f32_i32_e32 v28, v28
	v_dot4_i32_i8 v25, v25, v48, 0
	v_fmac_f32_e32 v51, v219, v32
	v_fma_f32 v29, v12, v29, -v13
	v_cvt_f32_i32_e32 v25, v25
	v_dot4_i32_i8 v26, v26, v49, 0
	v_cvt_f32_f16_e32 v31, v31
	v_fmac_f32_e32 v51, v29, v33
	v_fma_f32 v29, v12, v30, -v13
	v_cvt_f32_i32_e32 v26, v26
	v_fmac_f32_e32 v51, v29, v33
	v_fma_f32 v27, v14, v27, -v15
	v_fmac_f32_e32 v51, v27, v50
	v_fma_f32 v27, v14, v28, -v15
	;; [unrolled: 2-line block ×4, first 2 shown]
	v_fmac_f32_e32 v51, v25, v31
	ds_bpermute_b32 v25, v206, v51
	v_cndmask_b32_e64 v27, 0, 1, s[34:35]
	v_cmp_ne_u32_e64 s[16:17], 1, v27
	s_andn2_b64 vcc, exec, s[34:35]
	s_waitcnt lgkmcnt(0)
	v_add_f32_e32 v25, v51, v25
	ds_bpermute_b32 v26, v207, v25
	s_waitcnt lgkmcnt(0)
	v_add_f32_e32 v25, v25, v26
	s_cbranch_vccnz .LBB19_21
; %bb.20:                               ;   in Loop: Header=BB19_17 Depth=1
	v_mov_b32_e32 v27, s47
	v_add_co_u32_e32 v26, vcc, s6, v60
	v_addc_co_u32_e32 v27, vcc, v61, v27, vcc
	global_load_ushort v26, v[26:27], off
	s_waitcnt vmcnt(0)
	v_fma_mix_f32 v25, v56, v26, v25 op_sel_hi:[0,1,0]
.LBB19_21:                              ;   in Loop: Header=BB19_17 Depth=1
	v_add_co_u32_e32 v26, vcc, s29, v70
	v_addc_co_u32_e32 v27, vcc, 0, v71, vcc
	global_load_dword v28, v[26:27], off offset:2
	global_load_dword v29, v[26:27], off offset:20
	;; [unrolled: 1-line block ×4, first 2 shown]
	v_add_co_u32_e32 v26, vcc, s29, v74
	v_addc_co_u32_e32 v27, vcc, 0, v75, vcc
	global_load_ushort v50, v[26:27], off
	global_load_ushort v51, v[26:27], off offset:18
	global_load_ushort v219, v[26:27], off offset:36
	;; [unrolled: 1-line block ×3, first 2 shown]
	s_andn2_b64 vcc, exec, s[30:31]
	s_waitcnt vmcnt(7)
	v_and_b32_e32 v220, 0xf0f0f0f, v28
	v_lshrrev_b32_e32 v26, 4, v28
	v_and_b32_e32 v221, 0xf0f0f0f, v26
	v_dot4_i32_i8 v26, v220, v34, 0
	s_waitcnt vmcnt(6)
	v_and_b32_e32 v31, 0xf0f0f0f, v29
	v_lshrrev_b32_e32 v28, 4, v29
	s_waitcnt vmcnt(4)
	v_lshrrev_b32_e32 v222, 4, v32
	v_dot4_i32_i8 v225, v221, v35, 0
	v_cvt_f32_i32_e32 v26, v26
	v_and_b32_e32 v27, 0xf0f0f0f, v32
	v_and_b32_e32 v32, 0xf0f0f0f, v28
	;; [unrolled: 1-line block ×3, first 2 shown]
	v_dot4_i32_i8 v222, v31, v36, 0
	v_cvt_f32_i32_e32 v225, v225
	v_and_b32_e32 v29, 0xf0f0f0f, v30
	v_lshrrev_b32_e32 v30, 4, v30
	v_dot4_i32_i8 v226, v32, v37, 0
	v_cvt_f32_i32_e32 v222, v222
	v_and_b32_e32 v30, 0xf0f0f0f, v30
	v_dot4_i32_i8 v223, v29, v38, 0
	v_cvt_f32_i32_e32 v226, v226
	v_dot4_i32_i8 v227, v30, v39, 0
	v_cvt_f32_i32_e32 v223, v223
	v_fma_f32 v26, v2, v26, -v3
	v_dot4_i32_i8 v224, v27, v40, 0
	v_cvt_f32_i32_e32 v227, v227
	v_fma_f32 v225, v2, v225, -v3
	s_waitcnt vmcnt(3)
	v_fma_mix_f32 v26, v26, v50, 0 op_sel_hi:[0,1,0]
	v_dot4_i32_i8 v228, v28, v41, 0
	v_cvt_f32_i32_e32 v224, v224
	v_fma_f32 v222, v4, v222, -v5
	v_fma_mix_f32 v26, v225, v50, v26 op_sel_hi:[0,1,0]
	v_cvt_f32_i32_e32 v228, v228
	v_fma_f32 v226, v4, v226, -v5
	s_waitcnt vmcnt(2)
	v_fma_mix_f32 v26, v222, v51, v26 op_sel_hi:[0,1,0]
	v_fma_f32 v223, v6, v223, -v7
	v_fma_mix_f32 v26, v226, v51, v26 op_sel_hi:[0,1,0]
	v_fma_f32 v227, v6, v227, -v7
	s_waitcnt vmcnt(1)
	v_fma_mix_f32 v26, v223, v219, v26 op_sel_hi:[0,1,0]
	v_fma_mix_f32 v26, v227, v219, v26 op_sel_hi:[0,1,0]
	v_fma_f32 v222, v8, v224, -v9
	v_fma_f32 v228, v8, v228, -v9
	s_waitcnt vmcnt(0)
	v_fma_mix_f32 v26, v222, v33, v26 op_sel_hi:[0,1,0]
	v_fma_mix_f32 v26, v228, v33, v26 op_sel_hi:[0,1,0]
	ds_bpermute_b32 v222, v206, v26
	v_cndmask_b32_e64 v223, 0, 1, s[30:31]
	v_cmp_ne_u32_e64 s[18:19], 1, v223
	s_waitcnt lgkmcnt(0)
	v_add_f32_e32 v26, v26, v222
	ds_bpermute_b32 v222, v207, v26
	s_waitcnt lgkmcnt(0)
	v_add_f32_e32 v26, v26, v222
	s_cbranch_vccnz .LBB19_23
; %bb.22:                               ;   in Loop: Header=BB19_17 Depth=1
	v_mov_b32_e32 v223, s47
	v_add_co_u32_e32 v222, vcc, s6, v212
	v_addc_co_u32_e32 v223, vcc, v213, v223, vcc
	global_load_ushort v222, v[222:223], off offset:2
	s_waitcnt vmcnt(0)
	v_fma_mix_f32 v26, v56, v222, v26 op_sel_hi:[0,1,0]
.LBB19_23:                              ;   in Loop: Header=BB19_17 Depth=1
	v_dot4_i32_i8 v220, v220, v42, 0
	v_cvt_f32_i32_e32 v220, v220
	v_dot4_i32_i8 v221, v221, v43, 0
	v_cvt_f32_f16_e32 v50, v50
	v_cvt_f32_i32_e32 v221, v221
	v_dot4_i32_i8 v31, v31, v44, 0
	v_cvt_f32_i32_e32 v31, v31
	v_dot4_i32_i8 v32, v32, v45, 0
	v_cvt_f32_f16_e32 v51, v51
	v_cvt_f32_i32_e32 v32, v32
	v_dot4_i32_i8 v29, v29, v46, 0
	v_fma_f32 v220, v10, v220, -v11
	v_cvt_f32_i32_e32 v29, v29
	v_dot4_i32_i8 v30, v30, v47, 0
	v_cvt_f32_f16_e32 v219, v219
	v_fma_f32 v220, v220, v50, 0
	v_fma_f32 v221, v10, v221, -v11
	v_cvt_f32_i32_e32 v30, v30
	v_dot4_i32_i8 v27, v27, v48, 0
	v_fmac_f32_e32 v220, v221, v50
	v_fma_f32 v31, v12, v31, -v13
	v_cvt_f32_i32_e32 v27, v27
	v_dot4_i32_i8 v28, v28, v49, 0
	v_cvt_f32_f16_e32 v33, v33
	v_fmac_f32_e32 v220, v31, v51
	v_fma_f32 v31, v12, v32, -v13
	v_cvt_f32_i32_e32 v28, v28
	v_fmac_f32_e32 v220, v31, v51
	v_fma_f32 v29, v14, v29, -v15
	v_fmac_f32_e32 v220, v29, v219
	v_fma_f32 v29, v14, v30, -v15
	;; [unrolled: 2-line block ×4, first 2 shown]
	v_fmac_f32_e32 v220, v27, v33
	ds_bpermute_b32 v27, v206, v220
	s_and_b64 vcc, exec, s[16:17]
	s_waitcnt lgkmcnt(0)
	v_add_f32_e32 v27, v220, v27
	ds_bpermute_b32 v28, v207, v27
	s_waitcnt lgkmcnt(0)
	v_add_f32_e32 v27, v27, v28
	s_cbranch_vccnz .LBB19_25
; %bb.24:                               ;   in Loop: Header=BB19_17 Depth=1
	v_mov_b32_e32 v29, s47
	v_add_co_u32_e32 v28, vcc, s6, v66
	v_addc_co_u32_e32 v29, vcc, v67, v29, vcc
	global_load_ushort v28, v[28:29], off offset:2
	s_waitcnt vmcnt(0)
	v_fma_mix_f32 v27, v56, v28, v27 op_sel_hi:[0,1,0]
.LBB19_25:                              ;   in Loop: Header=BB19_17 Depth=1
	v_add_co_u32_e32 v28, vcc, s29, v64
	v_addc_co_u32_e32 v29, vcc, 0, v65, vcc
	global_load_dword v30, v[28:29], off offset:2
	global_load_dword v31, v[28:29], off offset:20
	;; [unrolled: 1-line block ×4, first 2 shown]
	v_add_co_u32_e32 v28, vcc, s29, v68
	v_addc_co_u32_e32 v29, vcc, 0, v69, vcc
	global_load_ushort v219, v[28:29], off
	global_load_ushort v220, v[28:29], off offset:18
	global_load_ushort v221, v[28:29], off offset:36
	;; [unrolled: 1-line block ×3, first 2 shown]
	s_and_b64 vcc, exec, s[18:19]
	s_waitcnt vmcnt(7)
	v_and_b32_e32 v222, 0xf0f0f0f, v30
	v_lshrrev_b32_e32 v28, 4, v30
	v_and_b32_e32 v223, 0xf0f0f0f, v28
	v_dot4_i32_i8 v28, v222, v34, 0
	s_waitcnt vmcnt(6)
	v_and_b32_e32 v33, 0xf0f0f0f, v31
	v_lshrrev_b32_e32 v30, 4, v31
	s_waitcnt vmcnt(4)
	v_lshrrev_b32_e32 v224, 4, v50
	v_dot4_i32_i8 v227, v223, v35, 0
	v_cvt_f32_i32_e32 v28, v28
	v_and_b32_e32 v29, 0xf0f0f0f, v50
	v_and_b32_e32 v50, 0xf0f0f0f, v30
	;; [unrolled: 1-line block ×3, first 2 shown]
	v_dot4_i32_i8 v224, v33, v36, 0
	v_cvt_f32_i32_e32 v227, v227
	v_and_b32_e32 v31, 0xf0f0f0f, v32
	v_lshrrev_b32_e32 v32, 4, v32
	v_dot4_i32_i8 v228, v50, v37, 0
	v_cvt_f32_i32_e32 v224, v224
	v_and_b32_e32 v32, 0xf0f0f0f, v32
	v_dot4_i32_i8 v225, v31, v38, 0
	v_cvt_f32_i32_e32 v228, v228
	v_dot4_i32_i8 v229, v32, v39, 0
	v_cvt_f32_i32_e32 v225, v225
	v_fma_f32 v28, v2, v28, -v3
	v_dot4_i32_i8 v226, v29, v40, 0
	v_cvt_f32_i32_e32 v229, v229
	v_fma_f32 v227, v2, v227, -v3
	s_waitcnt vmcnt(3)
	v_fma_mix_f32 v28, v28, v219, 0 op_sel_hi:[0,1,0]
	v_dot4_i32_i8 v230, v30, v41, 0
	v_cvt_f32_i32_e32 v226, v226
	v_fma_f32 v224, v4, v224, -v5
	v_fma_mix_f32 v28, v227, v219, v28 op_sel_hi:[0,1,0]
	v_cvt_f32_i32_e32 v230, v230
	v_fma_f32 v228, v4, v228, -v5
	s_waitcnt vmcnt(2)
	v_fma_mix_f32 v28, v224, v220, v28 op_sel_hi:[0,1,0]
	v_fma_f32 v225, v6, v225, -v7
	v_fma_mix_f32 v28, v228, v220, v28 op_sel_hi:[0,1,0]
	v_fma_f32 v229, v6, v229, -v7
	s_waitcnt vmcnt(1)
	v_fma_mix_f32 v28, v225, v221, v28 op_sel_hi:[0,1,0]
	v_fma_mix_f32 v28, v229, v221, v28 op_sel_hi:[0,1,0]
	v_fma_f32 v224, v8, v226, -v9
	v_fma_f32 v230, v8, v230, -v9
	s_waitcnt vmcnt(0)
	v_fma_mix_f32 v28, v224, v51, v28 op_sel_hi:[0,1,0]
	v_fma_mix_f32 v28, v230, v51, v28 op_sel_hi:[0,1,0]
	ds_bpermute_b32 v224, v206, v28
	s_waitcnt lgkmcnt(0)
	v_add_f32_e32 v28, v28, v224
	ds_bpermute_b32 v224, v207, v28
	s_waitcnt lgkmcnt(0)
	v_add_f32_e32 v28, v28, v224
	s_cbranch_vccnz .LBB19_27
; %bb.26:                               ;   in Loop: Header=BB19_17 Depth=1
	v_mov_b32_e32 v225, s47
	v_add_co_u32_e32 v224, vcc, s6, v212
	v_addc_co_u32_e32 v225, vcc, v213, v225, vcc
	global_load_ushort v224, v[224:225], off offset:4
	s_waitcnt vmcnt(0)
	v_fma_mix_f32 v28, v56, v224, v28 op_sel_hi:[0,1,0]
.LBB19_27:                              ;   in Loop: Header=BB19_17 Depth=1
	v_dot4_i32_i8 v222, v222, v42, 0
	v_cvt_f32_i32_e32 v222, v222
	v_dot4_i32_i8 v223, v223, v43, 0
	v_cvt_f32_f16_e32 v219, v219
	v_cvt_f32_i32_e32 v223, v223
	v_dot4_i32_i8 v33, v33, v44, 0
	v_cvt_f32_i32_e32 v33, v33
	v_dot4_i32_i8 v50, v50, v45, 0
	v_cvt_f32_f16_e32 v220, v220
	v_cvt_f32_i32_e32 v50, v50
	v_dot4_i32_i8 v31, v31, v46, 0
	v_fma_f32 v222, v10, v222, -v11
	v_cvt_f32_i32_e32 v31, v31
	v_dot4_i32_i8 v32, v32, v47, 0
	v_cvt_f32_f16_e32 v221, v221
	v_fma_f32 v222, v222, v219, 0
	v_fma_f32 v223, v10, v223, -v11
	v_cvt_f32_i32_e32 v32, v32
	v_dot4_i32_i8 v29, v29, v48, 0
	v_fmac_f32_e32 v222, v223, v219
	v_fma_f32 v33, v12, v33, -v13
	v_cvt_f32_i32_e32 v29, v29
	v_dot4_i32_i8 v30, v30, v49, 0
	v_cvt_f32_f16_e32 v51, v51
	v_fmac_f32_e32 v222, v33, v220
	v_fma_f32 v33, v12, v50, -v13
	v_cvt_f32_i32_e32 v30, v30
	v_fmac_f32_e32 v222, v33, v220
	v_fma_f32 v31, v14, v31, -v15
	v_fmac_f32_e32 v222, v31, v221
	v_fma_f32 v31, v14, v32, -v15
	;; [unrolled: 2-line block ×4, first 2 shown]
	v_fmac_f32_e32 v222, v29, v51
	ds_bpermute_b32 v29, v206, v222
	s_and_b64 vcc, exec, s[16:17]
	s_waitcnt lgkmcnt(0)
	v_add_f32_e32 v29, v222, v29
	ds_bpermute_b32 v30, v207, v29
	s_waitcnt lgkmcnt(0)
	v_add_f32_e32 v29, v29, v30
	s_cbranch_vccnz .LBB19_29
; %bb.28:                               ;   in Loop: Header=BB19_17 Depth=1
	v_mov_b32_e32 v31, s47
	v_add_co_u32_e32 v30, vcc, s6, v66
	v_addc_co_u32_e32 v31, vcc, v67, v31, vcc
	global_load_ushort v30, v[30:31], off offset:4
	s_waitcnt vmcnt(0)
	v_fma_mix_f32 v29, v56, v30, v29 op_sel_hi:[0,1,0]
.LBB19_29:                              ;   in Loop: Header=BB19_17 Depth=1
	v_add_co_u32_e32 v30, vcc, s29, v58
	v_addc_co_u32_e32 v31, vcc, 0, v59, vcc
	global_load_dword v32, v[30:31], off offset:2
	global_load_dword v33, v[30:31], off offset:20
	;; [unrolled: 1-line block ×4, first 2 shown]
	v_add_co_u32_e32 v30, vcc, s29, v62
	v_addc_co_u32_e32 v31, vcc, 0, v63, vcc
	global_load_ushort v221, v[30:31], off
	global_load_ushort v222, v[30:31], off offset:18
	global_load_ushort v223, v[30:31], off offset:36
	;; [unrolled: 1-line block ×3, first 2 shown]
	s_and_b64 vcc, exec, s[18:19]
	s_waitcnt vmcnt(7)
	v_and_b32_e32 v224, 0xf0f0f0f, v32
	v_lshrrev_b32_e32 v30, 4, v32
	v_and_b32_e32 v225, 0xf0f0f0f, v30
	v_dot4_i32_i8 v30, v224, v34, 0
	s_waitcnt vmcnt(6)
	v_and_b32_e32 v51, 0xf0f0f0f, v33
	v_lshrrev_b32_e32 v32, 4, v33
	s_waitcnt vmcnt(4)
	v_lshrrev_b32_e32 v226, 4, v219
	v_dot4_i32_i8 v229, v225, v35, 0
	v_cvt_f32_i32_e32 v30, v30
	v_and_b32_e32 v31, 0xf0f0f0f, v219
	v_and_b32_e32 v219, 0xf0f0f0f, v32
	v_and_b32_e32 v32, 0xf0f0f0f, v226
	v_dot4_i32_i8 v226, v51, v36, 0
	v_cvt_f32_i32_e32 v229, v229
	v_and_b32_e32 v33, 0xf0f0f0f, v50
	v_lshrrev_b32_e32 v50, 4, v50
	v_dot4_i32_i8 v230, v219, v37, 0
	v_cvt_f32_i32_e32 v226, v226
	v_and_b32_e32 v50, 0xf0f0f0f, v50
	v_dot4_i32_i8 v227, v33, v38, 0
	v_cvt_f32_i32_e32 v230, v230
	v_dot4_i32_i8 v231, v50, v39, 0
	v_cvt_f32_i32_e32 v227, v227
	v_fma_f32 v30, v2, v30, -v3
	v_dot4_i32_i8 v228, v31, v40, 0
	v_cvt_f32_i32_e32 v231, v231
	v_fma_f32 v229, v2, v229, -v3
	s_waitcnt vmcnt(3)
	v_fma_mix_f32 v30, v30, v221, 0 op_sel_hi:[0,1,0]
	v_dot4_i32_i8 v232, v32, v41, 0
	v_cvt_f32_i32_e32 v228, v228
	v_fma_f32 v226, v4, v226, -v5
	v_fma_mix_f32 v30, v229, v221, v30 op_sel_hi:[0,1,0]
	v_cvt_f32_i32_e32 v232, v232
	v_fma_f32 v230, v4, v230, -v5
	s_waitcnt vmcnt(2)
	v_fma_mix_f32 v30, v226, v222, v30 op_sel_hi:[0,1,0]
	v_fma_f32 v227, v6, v227, -v7
	v_fma_mix_f32 v30, v230, v222, v30 op_sel_hi:[0,1,0]
	v_fma_f32 v231, v6, v231, -v7
	s_waitcnt vmcnt(1)
	v_fma_mix_f32 v30, v227, v223, v30 op_sel_hi:[0,1,0]
	v_fma_mix_f32 v30, v231, v223, v30 op_sel_hi:[0,1,0]
	v_fma_f32 v226, v8, v228, -v9
	v_fma_f32 v232, v8, v232, -v9
	s_waitcnt vmcnt(0)
	v_fma_mix_f32 v30, v226, v220, v30 op_sel_hi:[0,1,0]
	v_fma_mix_f32 v30, v232, v220, v30 op_sel_hi:[0,1,0]
	ds_bpermute_b32 v226, v206, v30
	s_waitcnt lgkmcnt(0)
	v_add_f32_e32 v30, v30, v226
	ds_bpermute_b32 v226, v207, v30
	s_waitcnt lgkmcnt(0)
	v_add_f32_e32 v30, v30, v226
	s_cbranch_vccnz .LBB19_31
; %bb.30:                               ;   in Loop: Header=BB19_17 Depth=1
	v_mov_b32_e32 v227, s47
	v_add_co_u32_e32 v226, vcc, s6, v212
	v_addc_co_u32_e32 v227, vcc, v213, v227, vcc
	global_load_ushort v226, v[226:227], off offset:6
	s_waitcnt vmcnt(0)
	v_fma_mix_f32 v30, v56, v226, v30 op_sel_hi:[0,1,0]
.LBB19_31:                              ;   in Loop: Header=BB19_17 Depth=1
	v_dot4_i32_i8 v224, v224, v42, 0
	v_cvt_f32_i32_e32 v224, v224
	v_dot4_i32_i8 v225, v225, v43, 0
	v_cvt_f32_f16_e32 v221, v221
	v_cvt_f32_i32_e32 v225, v225
	v_dot4_i32_i8 v51, v51, v44, 0
	v_cvt_f32_i32_e32 v51, v51
	v_dot4_i32_i8 v219, v219, v45, 0
	v_cvt_f32_f16_e32 v222, v222
	v_cvt_f32_i32_e32 v219, v219
	v_dot4_i32_i8 v33, v33, v46, 0
	v_fma_f32 v224, v10, v224, -v11
	v_cvt_f32_i32_e32 v33, v33
	v_dot4_i32_i8 v50, v50, v47, 0
	v_cvt_f32_f16_e32 v223, v223
	v_fma_f32 v224, v224, v221, 0
	v_fma_f32 v225, v10, v225, -v11
	v_cvt_f32_i32_e32 v50, v50
	v_dot4_i32_i8 v31, v31, v48, 0
	v_fmac_f32_e32 v224, v225, v221
	v_fma_f32 v51, v12, v51, -v13
	v_cvt_f32_i32_e32 v31, v31
	v_dot4_i32_i8 v32, v32, v49, 0
	v_cvt_f32_f16_e32 v220, v220
	v_fmac_f32_e32 v224, v51, v222
	v_fma_f32 v51, v12, v219, -v13
	v_cvt_f32_i32_e32 v32, v32
	v_fmac_f32_e32 v224, v51, v222
	v_fma_f32 v33, v14, v33, -v15
	v_fmac_f32_e32 v224, v33, v223
	v_fma_f32 v33, v14, v50, -v15
	;; [unrolled: 2-line block ×4, first 2 shown]
	v_fmac_f32_e32 v224, v31, v220
	ds_bpermute_b32 v31, v206, v224
	s_and_b64 vcc, exec, s[16:17]
	s_waitcnt lgkmcnt(0)
	v_add_f32_e32 v31, v224, v31
	ds_bpermute_b32 v32, v207, v31
	s_waitcnt lgkmcnt(0)
	v_add_f32_e32 v31, v31, v32
	s_cbranch_vccnz .LBB19_33
; %bb.32:                               ;   in Loop: Header=BB19_17 Depth=1
	v_mov_b32_e32 v33, s47
	v_add_co_u32_e32 v32, vcc, s6, v66
	v_addc_co_u32_e32 v33, vcc, v67, v33, vcc
	global_load_ushort v32, v[32:33], off offset:6
	s_waitcnt vmcnt(0)
	v_fma_mix_f32 v31, v56, v32, v31 op_sel_hi:[0,1,0]
.LBB19_33:                              ;   in Loop: Header=BB19_17 Depth=1
	v_add_f32_e32 v32, 0x40051340, v24
	v_add_f32_e32 v33, 0x40051340, v26
	v_max3_f32 v32, v23, v32, v33
	v_add_f32_e32 v33, 0x40051340, v28
	v_add_f32_e32 v50, 0x40051340, v30
	v_max3_f32 v32, v32, v33, v50
	ds_bpermute_b32 v33, v208, v32
	v_cndmask_b32_e64 v24, v217, v24, s[8:9]
	v_cndmask_b32_e64 v24, v24, v26, s[10:11]
	;; [unrolled: 1-line block ×4, first 2 shown]
	s_waitcnt lgkmcnt(0)
	v_max_f32_e32 v33, v33, v33
	v_max_f32_e32 v32, v32, v33
	ds_bpermute_b32 v33, v209, v32
	v_cndmask_b32_e64 v50, v50, v27, s[10:11]
	v_cndmask_b32_e64 v26, v50, v29, s[12:13]
	v_add_f32_e32 v25, 0x40051340, v25
	v_add_f32_e32 v27, 0x40051340, v27
	s_waitcnt lgkmcnt(0)
	v_max_f32_e32 v28, v33, v33
	v_max_f32_e32 v28, v32, v28
	ds_bpermute_b32 v32, v210, v28
	v_max3_f32 v25, v22, v25, v27
	v_add_f32_e32 v27, 0x40051340, v29
	v_add_f32_e32 v29, 0x40051340, v31
	v_cndmask_b32_e64 v24, v24, v30, s[14:15]
	s_waitcnt lgkmcnt(0)
	v_max_f32_e32 v32, v32, v32
	v_max_f32_e32 v50, v28, v32
	v_sub_f32_e32 v23, v23, v50
	v_mul_f32_e32 v28, 0x3fb8aa3b, v23
	v_fma_f32 v32, v23, s40, -v28
	v_rndne_f32_e32 v33, v28
	v_fmac_f32_e32 v32, 0x32a5705f, v23
	v_sub_f32_e32 v28, v28, v33
	v_add_f32_e32 v28, v28, v32
	v_exp_f32_e32 v28, v28
	v_cvt_i32_f32_e32 v32, v33
	v_max3_f32 v25, v25, v27, v29
	v_cndmask_b32_e64 v27, v26, v31, s[14:15]
	v_cmp_ngt_f32_e32 vcc, s41, v23
	v_ldexp_f32 v26, v28, v32
	v_sub_f32_e32 v28, v24, v50
	v_mul_f32_e32 v24, 0x3fb8aa3b, v28
	v_fma_f32 v29, v28, s40, -v24
	v_rndne_f32_e32 v30, v24
	v_fmac_f32_e32 v29, 0x32a5705f, v28
	v_sub_f32_e32 v24, v24, v30
	v_add_f32_e32 v24, v24, v29
	v_cvt_i32_f32_e32 v29, v30
	ds_bpermute_b32 v30, v208, v25
	v_cndmask_b32_e32 v26, 0, v26, vcc
	v_cmp_nlt_f32_e32 vcc, s42, v23
	v_exp_f32_e32 v24, v24
	v_cndmask_b32_e32 v31, v216, v26, vcc
	s_waitcnt lgkmcnt(0)
	v_max_f32_e32 v23, v30, v30
	v_max_f32_e32 v30, v25, v23
	ds_bpermute_b32 v32, v209, v30
	v_add_co_u32_e32 v23, vcc, s27, v72
	v_ldexp_f32 v29, v24, v29
	v_addc_co_u32_e32 v24, vcc, 0, v73, vcc
	v_add_co_u32_e32 v25, vcc, s27, v78
	v_addc_co_u32_e32 v26, vcc, 0, v79, vcc
	global_load_ushort v227, v[23:24], off
	global_load_dword v228, v[25:26], off offset:2
	s_waitcnt lgkmcnt(0)
	v_max_f32_e32 v24, v32, v32
	v_max_f32_e32 v24, v30, v24
	ds_bpermute_b32 v25, v210, v24
	v_cmp_ngt_f32_e32 vcc, s41, v28
	v_cndmask_b32_e32 v23, 0, v29, vcc
	v_cmp_nlt_f32_e32 vcc, s42, v28
	v_cndmask_b32_e32 v217, v216, v23, vcc
	s_waitcnt lgkmcnt(0)
	v_max_f32_e32 v23, v25, v25
	v_max_f32_e32 v51, v24, v23
	v_sub_f32_e32 v29, v22, v51
	v_mul_f32_e32 v22, 0x3fb8aa3b, v29
	v_fma_f32 v23, v29, s40, -v22
	v_rndne_f32_e32 v30, v22
	v_fmac_f32_e32 v23, 0x32a5705f, v29
	v_sub_f32_e32 v22, v22, v30
	v_add_f32_e32 v22, v22, v23
	v_fma_f32 v100, v100, v31, v217
	v_cvt_f16_f32_e32 v28, v31
	v_exp_f32_e32 v31, v22
	v_add_co_u32_e32 v22, vcc, s27, v80
	v_addc_co_u32_e32 v23, vcc, 0, v81, vcc
	v_add_co_u32_e32 v24, vcc, s27, v204
	v_addc_co_u32_e32 v25, vcc, 0, v205, vcc
	global_load_ushort v231, v[22:23], off
	global_load_dword v232, v[24:25], off offset:2
	v_cvt_i32_f32_e32 v22, v30
	v_cvt_f16_f32_e32 v26, v217
	v_mul_u32_u24_e32 v23, 0x10001, v28
	v_pk_mul_f16 v233, v21, v23
	v_ldexp_f32 v21, v31, v22
	v_sub_f32_e32 v22, v27, v51
	v_mul_f32_e32 v24, 0x3fb8aa3b, v22
	ds_write_b16 v55, v26
	v_fma_f32 v25, v22, s40, -v24
	v_rndne_f32_e32 v26, v24
	v_fmac_f32_e32 v25, 0x32a5705f, v22
	v_sub_f32_e32 v24, v24, v26
	v_add_f32_e32 v24, v24, v25
	v_exp_f32_e32 v24, v24
	v_cvt_i32_f32_e32 v25, v26
	v_cmp_ngt_f32_e32 vcc, s41, v29
	v_cndmask_b32_e32 v21, 0, v21, vcc
	v_cmp_nlt_f32_e32 vcc, s42, v29
	v_cndmask_b32_e32 v21, v216, v21, vcc
	v_ldexp_f32 v24, v24, v25
	v_cmp_ngt_f32_e32 vcc, s41, v22
	v_cndmask_b32_e32 v24, 0, v24, vcc
	v_cmp_nlt_f32_e32 vcc, s42, v22
	v_cndmask_b32_e32 v218, v216, v24, vcc
	v_cvt_f16_f32_e32 v22, v218
	v_pk_mul_f16 v234, v20, v23
	v_add_co_u32_e32 v20, vcc, s27, v202
	v_cvt_f16_f32_e32 v24, v21
	v_fma_f32 v115, v115, v21, v218
	v_addc_co_u32_e32 v21, vcc, 0, v203, vcc
	ds_write_b16 v55, v22 offset:256
	v_add_co_u32_e32 v22, vcc, s27, v200
	v_addc_co_u32_e32 v23, vcc, 0, v201, vcc
	global_load_ushort v235, v[20:21], off
	global_load_dword v236, v[22:23], off offset:2
	v_mul_u32_u24_e32 v24, 0x10001, v24
	v_pk_mul_f16 v237, v18, v24
	v_pk_mul_f16 v238, v19, v24
	ds_read_b128 v[219:222], v211
	ds_read_b128 v[26:29], v211 offset:16
	ds_read_b128 v[223:226], v211 offset:256
	;; [unrolled: 1-line block ×5, first 2 shown]
	s_waitcnt lgkmcnt(5)
	v_mul_u32_u24_sdwa v239, v219, s43 dst_sel:DWORD dst_unused:UNUSED_PAD src0_sel:WORD_0 src1_sel:DWORD
	s_waitcnt lgkmcnt(3)
	v_mul_u32_u24_sdwa v240, v223, s43 dst_sel:DWORD dst_unused:UNUSED_PAD src0_sel:WORD_0 src1_sel:DWORD
	v_mul_u32_u24_sdwa v219, v219, s43 dst_sel:DWORD dst_unused:UNUSED_PAD src0_sel:WORD_1 src1_sel:DWORD
	v_mul_u32_u24_sdwa v223, v223, s43 dst_sel:DWORD dst_unused:UNUSED_PAD src0_sel:WORD_1 src1_sel:DWORD
	s_add_i32 s26, s26, s28
	s_cmp_ge_i32 s26, s25
	s_waitcnt vmcnt(5)
	v_mul_u32_u24_e32 v241, 0x10001, v227
	s_waitcnt vmcnt(4)
	v_pk_lshrrev_b16 v227, 8, v228 op_sel:[1,0] op_sel_hi:[0,0]
	v_lshrrev_b32_e32 v229, 16, v227
	v_cvt_f16_i16_sdwa v227, sext(v227) dst_sel:DWORD dst_unused:UNUSED_PAD src0_sel:BYTE_0
	v_cvt_f16_i16_sdwa v229, sext(v229) dst_sel:DWORD dst_unused:UNUSED_PAD src0_sel:BYTE_0
	v_pack_b32_f16 v227, v227, v229
	v_pk_mul_f16 v242, v227, v241
	v_add_co_u32_e32 v227, vcc, s27, v198
	v_pk_lshrrev_b16 v243, 8, v228 op_sel:[1,1] op_sel_hi:[0,1]
	v_addc_co_u32_e32 v228, vcc, 0, v199, vcc
	v_add_co_u32_e32 v229, vcc, s27, v196
	v_addc_co_u32_e32 v230, vcc, 0, v197, vcc
	global_load_ushort v245, v[227:228], off
	global_load_dword v246, v[229:230], off offset:2
	v_lshrrev_b32_e32 v244, 16, v243
	v_cvt_f16_i16_sdwa v227, sext(v243) dst_sel:DWORD dst_unused:UNUSED_PAD src0_sel:BYTE_0
	v_cvt_f16_i16_sdwa v228, sext(v244) dst_sel:DWORD dst_unused:UNUSED_PAD src0_sel:BYTE_0
	v_pack_b32_f16 v227, v227, v228
	v_pk_mul_f16 v227, v227, v241
	v_pk_fma_f16 v234, v227, v239, v234
	v_pk_fma_f16 v238, v227, v240, v238
	;; [unrolled: 1-line block ×4, first 2 shown]
	s_waitcnt vmcnt(5)
	v_mul_u32_u24_e32 v231, 0x10001, v231
	s_waitcnt vmcnt(4)
	v_pk_lshrrev_b16 v227, 8, v232 op_sel:[1,0] op_sel_hi:[0,0]
	v_lshrrev_b32_e32 v228, 16, v227
	v_cvt_f16_i16_sdwa v227, sext(v227) dst_sel:DWORD dst_unused:UNUSED_PAD src0_sel:BYTE_0
	v_cvt_f16_i16_sdwa v228, sext(v228) dst_sel:DWORD dst_unused:UNUSED_PAD src0_sel:BYTE_0
	v_pack_b32_f16 v227, v227, v228
	v_pk_mul_f16 v239, v227, v231
	v_add_co_u32_e32 v227, vcc, s27, v194
	v_addc_co_u32_e32 v228, vcc, 0, v195, vcc
	v_add_co_u32_e32 v229, vcc, s27, v192
	v_pk_lshrrev_b16 v232, 8, v232 op_sel:[1,1] op_sel_hi:[0,1]
	v_addc_co_u32_e32 v230, vcc, 0, v193, vcc
	global_load_ushort v241, v[227:228], off
	global_load_dword v242, v[229:230], off offset:2
	v_lshrrev_b32_e32 v240, 16, v232
	v_cvt_f16_i16_sdwa v227, sext(v232) dst_sel:DWORD dst_unused:UNUSED_PAD src0_sel:BYTE_0
	v_cvt_f16_i16_sdwa v228, sext(v240) dst_sel:DWORD dst_unused:UNUSED_PAD src0_sel:BYTE_0
	v_pack_b32_f16 v227, v227, v228
	v_pk_mul_f16 v227, v227, v231
	v_pk_fma_f16 v231, v239, v219, v233
	v_pk_fma_f16 v232, v239, v223, v237
	v_pk_fma_f16 v219, v227, v219, v234
	v_pk_fma_f16 v223, v227, v223, v238
	v_add_co_u32_e32 v227, vcc, s27, v190
	v_addc_co_u32_e32 v228, vcc, 0, v191, vcc
	v_add_co_u32_e32 v229, vcc, s27, v188
	v_addc_co_u32_e32 v230, vcc, 0, v189, vcc
	global_load_ushort v234, v[227:228], off
	s_nop 0
	global_load_dword v229, v[229:230], off offset:2
	v_mul_u32_u24_sdwa v233, v220, s43 dst_sel:DWORD dst_unused:UNUSED_PAD src0_sel:WORD_0 src1_sel:DWORD
	v_mul_u32_u24_sdwa v227, v224, s43 dst_sel:DWORD dst_unused:UNUSED_PAD src0_sel:WORD_0 src1_sel:DWORD
	s_waitcnt vmcnt(7)
	v_mul_u32_u24_e32 v228, 0x10001, v235
	s_waitcnt vmcnt(6)
	v_pk_lshrrev_b16 v230, 8, v236 op_sel:[1,0] op_sel_hi:[0,0]
	v_lshrrev_b32_e32 v235, 16, v230
	v_cvt_f16_i16_sdwa v230, sext(v230) dst_sel:DWORD dst_unused:UNUSED_PAD src0_sel:BYTE_0
	v_cvt_f16_i16_sdwa v235, sext(v235) dst_sel:DWORD dst_unused:UNUSED_PAD src0_sel:BYTE_0
	v_pack_b32_f16 v230, v230, v235
	v_pk_lshrrev_b16 v235, 8, v236 op_sel:[1,1] op_sel_hi:[0,1]
	v_lshrrev_b32_e32 v236, 16, v235
	v_cvt_f16_i16_sdwa v235, sext(v235) dst_sel:DWORD dst_unused:UNUSED_PAD src0_sel:BYTE_0
	v_cvt_f16_i16_sdwa v236, sext(v236) dst_sel:DWORD dst_unused:UNUSED_PAD src0_sel:BYTE_0
	v_pack_b32_f16 v235, v235, v236
	v_pk_mul_f16 v230, v230, v228
	v_pk_mul_f16 v228, v235, v228
	v_pk_fma_f16 v231, v230, v233, v231
	v_pk_fma_f16 v230, v230, v227, v232
	;; [unrolled: 1-line block ×3, first 2 shown]
	v_add_co_u32_e32 v219, vcc, s27, v186
	v_mul_u32_u24_sdwa v233, v220, s43 dst_sel:DWORD dst_unused:UNUSED_PAD src0_sel:WORD_1 src1_sel:DWORD
	v_addc_co_u32_e32 v220, vcc, 0, v187, vcc
	v_pk_fma_f16 v223, v228, v227, v223
	v_add_co_u32_e32 v227, vcc, s27, v184
	v_addc_co_u32_e32 v228, vcc, 0, v185, vcc
	global_load_ushort v235, v[219:220], off
	s_nop 0
	global_load_dword v227, v[227:228], off offset:2
	v_mul_u32_u24_sdwa v219, v224, s43 dst_sel:DWORD dst_unused:UNUSED_PAD src0_sel:WORD_1 src1_sel:DWORD
	s_waitcnt vmcnt(7)
	v_mul_u32_u24_e32 v220, 0x10001, v245
	s_waitcnt vmcnt(6)
	v_pk_lshrrev_b16 v224, 8, v246 op_sel:[1,0] op_sel_hi:[0,0]
	v_lshrrev_b32_e32 v228, 16, v224
	v_cvt_f16_i16_sdwa v224, sext(v224) dst_sel:DWORD dst_unused:UNUSED_PAD src0_sel:BYTE_0
	v_cvt_f16_i16_sdwa v228, sext(v228) dst_sel:DWORD dst_unused:UNUSED_PAD src0_sel:BYTE_0
	v_pack_b32_f16 v224, v224, v228
	v_pk_lshrrev_b16 v228, 8, v246 op_sel:[1,1] op_sel_hi:[0,1]
	v_lshrrev_b32_e32 v236, 16, v228
	v_cvt_f16_i16_sdwa v228, sext(v228) dst_sel:DWORD dst_unused:UNUSED_PAD src0_sel:BYTE_0
	v_cvt_f16_i16_sdwa v236, sext(v236) dst_sel:DWORD dst_unused:UNUSED_PAD src0_sel:BYTE_0
	v_pack_b32_f16 v228, v228, v236
	v_pk_mul_f16 v224, v224, v220
	v_pk_mul_f16 v220, v228, v220
	v_pk_fma_f16 v228, v224, v233, v231
	v_pk_fma_f16 v230, v224, v219, v230
	;; [unrolled: 1-line block ×4, first 2 shown]
	v_add_co_u32_e32 v219, vcc, s27, v182
	v_addc_co_u32_e32 v220, vcc, 0, v183, vcc
	v_add_co_u32_e32 v223, vcc, s27, v180
	v_addc_co_u32_e32 v224, vcc, 0, v181, vcc
	global_load_ushort v236, v[219:220], off
	global_load_dword v237, v[223:224], off offset:2
	v_mul_u32_u24_sdwa v219, v225, s43 dst_sel:DWORD dst_unused:UNUSED_PAD src0_sel:WORD_0 src1_sel:DWORD
	v_mul_u32_u24_sdwa v233, v221, s43 dst_sel:DWORD dst_unused:UNUSED_PAD src0_sel:WORD_0 src1_sel:DWORD
	s_waitcnt vmcnt(7)
	v_mul_u32_u24_e32 v220, 0x10001, v241
	s_waitcnt vmcnt(6)
	v_pk_lshrrev_b16 v223, 8, v242 op_sel:[1,0] op_sel_hi:[0,0]
	v_lshrrev_b32_e32 v224, 16, v223
	v_cvt_f16_i16_sdwa v223, sext(v223) dst_sel:DWORD dst_unused:UNUSED_PAD src0_sel:BYTE_0
	v_cvt_f16_i16_sdwa v224, sext(v224) dst_sel:DWORD dst_unused:UNUSED_PAD src0_sel:BYTE_0
	v_pack_b32_f16 v223, v223, v224
	v_pk_lshrrev_b16 v224, 8, v242 op_sel:[1,1] op_sel_hi:[0,1]
	v_lshrrev_b32_e32 v238, 16, v224
	v_cvt_f16_i16_sdwa v224, sext(v224) dst_sel:DWORD dst_unused:UNUSED_PAD src0_sel:BYTE_0
	v_cvt_f16_i16_sdwa v238, sext(v238) dst_sel:DWORD dst_unused:UNUSED_PAD src0_sel:BYTE_0
	v_pack_b32_f16 v224, v224, v238
	v_pk_mul_f16 v223, v223, v220
	v_pk_mul_f16 v220, v224, v220
	v_pk_fma_f16 v230, v223, v219, v230
	v_pk_fma_f16 v232, v220, v219, v232
	v_pk_fma_f16 v231, v220, v233, v231
	v_pk_fma_f16 v228, v223, v233, v228
	v_mul_u32_u24_sdwa v221, v221, s43 dst_sel:DWORD dst_unused:UNUSED_PAD src0_sel:WORD_1 src1_sel:DWORD
	s_waitcnt vmcnt(5)
	v_mul_u32_u24_e32 v233, 0x10001, v234
	s_waitcnt vmcnt(4)
	v_pk_lshrrev_b16 v219, 8, v229 op_sel:[1,0] op_sel_hi:[0,0]
	v_lshrrev_b32_e32 v220, 16, v219
	v_cvt_f16_i16_sdwa v219, sext(v219) dst_sel:DWORD dst_unused:UNUSED_PAD src0_sel:BYTE_0
	v_cvt_f16_i16_sdwa v220, sext(v220) dst_sel:DWORD dst_unused:UNUSED_PAD src0_sel:BYTE_0
	v_pack_b32_f16 v219, v219, v220
	v_pk_mul_f16 v234, v219, v233
	v_add_co_u32_e32 v219, vcc, s27, v178
	v_addc_co_u32_e32 v220, vcc, 0, v179, vcc
	v_add_co_u32_e32 v223, vcc, s27, v176
	v_addc_co_u32_e32 v224, vcc, 0, v177, vcc
	global_load_ushort v239, v[219:220], off
	global_load_dword v240, v[223:224], off offset:2
	v_pk_lshrrev_b16 v229, 8, v229 op_sel:[1,1] op_sel_hi:[0,1]
	v_lshrrev_b32_e32 v238, 16, v229
	v_cvt_f16_i16_sdwa v219, sext(v229) dst_sel:DWORD dst_unused:UNUSED_PAD src0_sel:BYTE_0
	v_cvt_f16_i16_sdwa v220, sext(v238) dst_sel:DWORD dst_unused:UNUSED_PAD src0_sel:BYTE_0
	v_pack_b32_f16 v219, v219, v220
	v_mul_u32_u24_sdwa v225, v225, s43 dst_sel:DWORD dst_unused:UNUSED_PAD src0_sel:WORD_1 src1_sel:DWORD
	v_pk_mul_f16 v219, v219, v233
	v_pk_fma_f16 v228, v234, v221, v228
	v_pk_fma_f16 v229, v234, v225, v230
	;; [unrolled: 1-line block ×4, first 2 shown]
	v_mul_u32_u24_sdwa v230, v222, s43 dst_sel:DWORD dst_unused:UNUSED_PAD src0_sel:WORD_0 src1_sel:DWORD
	v_mul_u32_u24_sdwa v231, v226, s43 dst_sel:DWORD dst_unused:UNUSED_PAD src0_sel:WORD_0 src1_sel:DWORD
	v_mul_u32_u24_sdwa v226, v226, s43 dst_sel:DWORD dst_unused:UNUSED_PAD src0_sel:WORD_1 src1_sel:DWORD
	s_waitcnt vmcnt(5)
	v_mul_u32_u24_e32 v232, 0x10001, v235
	s_waitcnt vmcnt(4)
	v_pk_lshrrev_b16 v219, 8, v227 op_sel:[1,0] op_sel_hi:[0,0]
	v_lshrrev_b32_e32 v220, 16, v219
	v_cvt_f16_i16_sdwa v219, sext(v219) dst_sel:DWORD dst_unused:UNUSED_PAD src0_sel:BYTE_0
	v_cvt_f16_i16_sdwa v220, sext(v220) dst_sel:DWORD dst_unused:UNUSED_PAD src0_sel:BYTE_0
	v_pack_b32_f16 v219, v219, v220
	v_pk_mul_f16 v233, v219, v232
	v_add_co_u32_e32 v219, vcc, s27, v174
	v_addc_co_u32_e32 v220, vcc, 0, v175, vcc
	v_add_co_u32_e32 v223, vcc, s27, v172
	v_addc_co_u32_e32 v224, vcc, 0, v173, vcc
	global_load_ushort v235, v[219:220], off
	s_nop 0
	global_load_dword v223, v[223:224], off offset:2
	v_pk_lshrrev_b16 v227, 8, v227 op_sel:[1,1] op_sel_hi:[0,1]
	v_lshrrev_b32_e32 v234, 16, v227
	v_cvt_f16_i16_sdwa v219, sext(v227) dst_sel:DWORD dst_unused:UNUSED_PAD src0_sel:BYTE_0
	v_cvt_f16_i16_sdwa v220, sext(v234) dst_sel:DWORD dst_unused:UNUSED_PAD src0_sel:BYTE_0
	v_pack_b32_f16 v219, v219, v220
	v_pk_mul_f16 v219, v219, v232
	v_pk_fma_f16 v224, v233, v230, v228
	v_pk_fma_f16 v228, v219, v230, v221
	;; [unrolled: 1-line block ×4, first 2 shown]
	v_mul_u32_u24_sdwa v229, v222, s43 dst_sel:DWORD dst_unused:UNUSED_PAD src0_sel:WORD_1 src1_sel:DWORD
	s_waitcnt vmcnt(5)
	v_mul_u32_u24_e32 v230, 0x10001, v236
	s_waitcnt vmcnt(4)
	v_pk_lshrrev_b16 v219, 8, v237 op_sel:[1,0] op_sel_hi:[0,0]
	v_lshrrev_b32_e32 v220, 16, v219
	v_cvt_f16_i16_sdwa v219, sext(v219) dst_sel:DWORD dst_unused:UNUSED_PAD src0_sel:BYTE_0
	v_cvt_f16_i16_sdwa v220, sext(v220) dst_sel:DWORD dst_unused:UNUSED_PAD src0_sel:BYTE_0
	v_pack_b32_f16 v219, v219, v220
	v_pk_mul_f16 v231, v219, v230
	v_add_co_u32_e32 v219, vcc, s27, v170
	v_addc_co_u32_e32 v220, vcc, 0, v171, vcc
	v_add_co_u32_e32 v221, vcc, s27, v168
	v_pk_lshrrev_b16 v232, 8, v237 op_sel:[1,1] op_sel_hi:[0,1]
	v_addc_co_u32_e32 v222, vcc, 0, v169, vcc
	global_load_ushort v234, v[219:220], off
	global_load_dword v236, v[221:222], off offset:2
	v_lshrrev_b32_e32 v233, 16, v232
	v_cvt_f16_i16_sdwa v219, sext(v232) dst_sel:DWORD dst_unused:UNUSED_PAD src0_sel:BYTE_0
	v_cvt_f16_i16_sdwa v220, sext(v233) dst_sel:DWORD dst_unused:UNUSED_PAD src0_sel:BYTE_0
	v_pack_b32_f16 v219, v219, v220
	v_pk_mul_f16 v219, v219, v230
	v_pk_fma_f16 v228, v219, v229, v228
	v_pk_fma_f16 v225, v219, v226, v225
	v_add_co_u32_e32 v219, vcc, s27, v166
	v_addc_co_u32_e32 v220, vcc, 0, v167, vcc
	v_add_co_u32_e32 v221, vcc, s27, v164
	v_pk_fma_f16 v224, v231, v229, v224
	v_addc_co_u32_e32 v222, vcc, 0, v165, vcc
	global_load_ushort v229, v[219:220], off
	global_load_dword v230, v[221:222], off offset:2
	v_pk_fma_f16 v227, v231, v226, v227
	s_waitcnt lgkmcnt(0)
	v_mul_u32_u24_sdwa v219, v30, s43 dst_sel:DWORD dst_unused:UNUSED_PAD src0_sel:WORD_0 src1_sel:DWORD
	s_waitcnt vmcnt(7)
	v_mul_u32_u24_e32 v220, 0x10001, v239
	s_waitcnt vmcnt(6)
	v_pk_lshrrev_b16 v221, 8, v240 op_sel:[1,0] op_sel_hi:[0,0]
	v_lshrrev_b32_e32 v222, 16, v221
	v_cvt_f16_i16_sdwa v221, sext(v221) dst_sel:DWORD dst_unused:UNUSED_PAD src0_sel:BYTE_0
	v_cvt_f16_i16_sdwa v222, sext(v222) dst_sel:DWORD dst_unused:UNUSED_PAD src0_sel:BYTE_0
	v_pack_b32_f16 v221, v221, v222
	v_pk_lshrrev_b16 v222, 8, v240 op_sel:[1,1] op_sel_hi:[0,1]
	v_lshrrev_b32_e32 v231, 16, v222
	v_cvt_f16_i16_sdwa v222, sext(v222) dst_sel:DWORD dst_unused:UNUSED_PAD src0_sel:BYTE_0
	v_cvt_f16_i16_sdwa v231, sext(v231) dst_sel:DWORD dst_unused:UNUSED_PAD src0_sel:BYTE_0
	v_pack_b32_f16 v222, v222, v231
	v_pk_mul_f16 v221, v221, v220
	v_pk_mul_f16 v220, v222, v220
	v_mul_u32_u24_sdwa v226, v26, s43 dst_sel:DWORD dst_unused:UNUSED_PAD src0_sel:WORD_0 src1_sel:DWORD
	v_pk_fma_f16 v227, v221, v219, v227
	v_pk_fma_f16 v225, v220, v219, v225
	v_add_co_u32_e32 v219, vcc, s27, v162
	v_pk_fma_f16 v224, v221, v226, v224
	v_pk_fma_f16 v226, v220, v226, v228
	v_addc_co_u32_e32 v220, vcc, 0, v163, vcc
	v_add_co_u32_e32 v221, vcc, s27, v160
	v_addc_co_u32_e32 v222, vcc, 0, v161, vcc
	global_load_ushort v228, v[219:220], off
	global_load_dword v231, v[221:222], off offset:2
	v_mul_u32_u24_sdwa v26, v26, s43 dst_sel:DWORD dst_unused:UNUSED_PAD src0_sel:WORD_1 src1_sel:DWORD
	v_mul_u32_u24_sdwa v30, v30, s43 dst_sel:DWORD dst_unused:UNUSED_PAD src0_sel:WORD_1 src1_sel:DWORD
	s_waitcnt vmcnt(7)
	v_mul_u32_u24_e32 v219, 0x10001, v235
	s_waitcnt vmcnt(6)
	v_pk_lshrrev_b16 v220, 8, v223 op_sel:[1,0] op_sel_hi:[0,0]
	v_lshrrev_b32_e32 v221, 16, v220
	v_cvt_f16_i16_sdwa v220, sext(v220) dst_sel:DWORD dst_unused:UNUSED_PAD src0_sel:BYTE_0
	v_cvt_f16_i16_sdwa v221, sext(v221) dst_sel:DWORD dst_unused:UNUSED_PAD src0_sel:BYTE_0
	v_pack_b32_f16 v220, v220, v221
	v_pk_lshrrev_b16 v221, 8, v223 op_sel:[1,1] op_sel_hi:[0,1]
	v_lshrrev_b32_e32 v222, 16, v221
	v_cvt_f16_i16_sdwa v221, sext(v221) dst_sel:DWORD dst_unused:UNUSED_PAD src0_sel:BYTE_0
	v_cvt_f16_i16_sdwa v222, sext(v222) dst_sel:DWORD dst_unused:UNUSED_PAD src0_sel:BYTE_0
	v_pack_b32_f16 v221, v221, v222
	v_pk_mul_f16 v220, v220, v219
	v_pk_mul_f16 v219, v221, v219
	v_pk_fma_f16 v223, v220, v26, v224
	v_pk_fma_f16 v224, v220, v30, v227
	;; [unrolled: 1-line block ×4, first 2 shown]
	v_add_co_u32_e32 v219, vcc, s27, v158
	v_addc_co_u32_e32 v220, vcc, 0, v159, vcc
	v_add_co_u32_e32 v221, vcc, s27, v156
	v_addc_co_u32_e32 v222, vcc, 0, v157, vcc
	global_load_ushort v219, v[219:220], off
	s_nop 0
	global_load_dword v220, v[221:222], off offset:2
	v_mul_u32_u24_sdwa v225, v27, s43 dst_sel:DWORD dst_unused:UNUSED_PAD src0_sel:WORD_0 src1_sel:DWORD
	v_mul_u32_u24_sdwa v221, v31, s43 dst_sel:DWORD dst_unused:UNUSED_PAD src0_sel:WORD_0 src1_sel:DWORD
	v_mul_u32_u24_sdwa v31, v31, s43 dst_sel:DWORD dst_unused:UNUSED_PAD src0_sel:WORD_1 src1_sel:DWORD
	s_waitcnt vmcnt(7)
	v_mul_u32_u24_e32 v222, 0x10001, v234
	s_waitcnt vmcnt(6)
	v_pk_lshrrev_b16 v226, 8, v236 op_sel:[1,0] op_sel_hi:[0,0]
	v_lshrrev_b32_e32 v227, 16, v226
	v_cvt_f16_i16_sdwa v226, sext(v226) dst_sel:DWORD dst_unused:UNUSED_PAD src0_sel:BYTE_0
	v_cvt_f16_i16_sdwa v227, sext(v227) dst_sel:DWORD dst_unused:UNUSED_PAD src0_sel:BYTE_0
	v_pack_b32_f16 v226, v226, v227
	v_pk_lshrrev_b16 v227, 8, v236 op_sel:[1,1] op_sel_hi:[0,1]
	v_lshrrev_b32_e32 v232, 16, v227
	v_cvt_f16_i16_sdwa v227, sext(v227) dst_sel:DWORD dst_unused:UNUSED_PAD src0_sel:BYTE_0
	v_cvt_f16_i16_sdwa v232, sext(v232) dst_sel:DWORD dst_unused:UNUSED_PAD src0_sel:BYTE_0
	v_pack_b32_f16 v227, v227, v232
	v_pk_mul_f16 v226, v226, v222
	v_pk_mul_f16 v222, v227, v222
	v_pk_fma_f16 v223, v226, v225, v223
	v_pk_fma_f16 v224, v226, v221, v224
	;; [unrolled: 1-line block ×3, first 2 shown]
	v_add_co_u32_e32 v26, vcc, s27, v154
	s_waitcnt vmcnt(4)
	v_pk_lshrrev_b16 v226, 8, v230 op_sel:[1,0] op_sel_hi:[0,0]
	v_pk_fma_f16 v30, v222, v221, v30
	v_mul_u32_u24_sdwa v221, v27, s43 dst_sel:DWORD dst_unused:UNUSED_PAD src0_sel:WORD_1 src1_sel:DWORD
	v_lshrrev_b32_e32 v227, 16, v226
	v_addc_co_u32_e32 v27, vcc, 0, v155, vcc
	v_mul_u32_u24_e32 v222, 0x10001, v229
	global_load_ushort v229, v[26:27], off
	v_cvt_f16_i16_sdwa v26, sext(v226) dst_sel:DWORD dst_unused:UNUSED_PAD src0_sel:BYTE_0
	v_cvt_f16_i16_sdwa v27, sext(v227) dst_sel:DWORD dst_unused:UNUSED_PAD src0_sel:BYTE_0
	v_pack_b32_f16 v26, v26, v27
	v_pk_mul_f16 v226, v26, v222
	v_add_co_u32_e32 v26, vcc, s27, v152
	v_addc_co_u32_e32 v27, vcc, 0, v153, vcc
	global_load_dword v232, v[26:27], off offset:2
	v_pk_lshrrev_b16 v227, 8, v230 op_sel:[1,1] op_sel_hi:[0,1]
	v_lshrrev_b32_e32 v230, 16, v227
	v_cvt_f16_i16_sdwa v26, sext(v227) dst_sel:DWORD dst_unused:UNUSED_PAD src0_sel:BYTE_0
	v_cvt_f16_i16_sdwa v27, sext(v230) dst_sel:DWORD dst_unused:UNUSED_PAD src0_sel:BYTE_0
	v_pack_b32_f16 v26, v26, v27
	v_pk_mul_f16 v26, v26, v222
	v_pk_fma_f16 v222, v226, v221, v223
	v_pk_fma_f16 v223, v226, v31, v224
	;; [unrolled: 1-line block ×4, first 2 shown]
	v_add_co_u32_e32 v26, vcc, s27, v150
	s_waitcnt vmcnt(4)
	v_pk_lshrrev_b16 v226, 8, v231 op_sel:[1,0] op_sel_hi:[0,0]
	v_lshrrev_b32_e32 v227, 16, v226
	v_addc_co_u32_e32 v27, vcc, 0, v151, vcc
	v_mul_u32_u24_e32 v225, 0x10001, v228
	global_load_ushort v228, v[26:27], off
	v_cvt_f16_i16_sdwa v26, sext(v226) dst_sel:DWORD dst_unused:UNUSED_PAD src0_sel:BYTE_0
	v_cvt_f16_i16_sdwa v27, sext(v227) dst_sel:DWORD dst_unused:UNUSED_PAD src0_sel:BYTE_0
	v_pack_b32_f16 v26, v26, v27
	v_pk_mul_f16 v226, v26, v225
	v_add_co_u32_e32 v26, vcc, s27, v148
	v_addc_co_u32_e32 v27, vcc, 0, v149, vcc
	v_pk_lshrrev_b16 v227, 8, v231 op_sel:[1,1] op_sel_hi:[0,1]
	global_load_dword v231, v[26:27], off offset:2
	v_lshrrev_b32_e32 v230, 16, v227
	v_cvt_f16_i16_sdwa v26, sext(v227) dst_sel:DWORD dst_unused:UNUSED_PAD src0_sel:BYTE_0
	v_cvt_f16_i16_sdwa v27, sext(v230) dst_sel:DWORD dst_unused:UNUSED_PAD src0_sel:BYTE_0
	v_pack_b32_f16 v26, v26, v27
	v_mul_u32_u24_sdwa v31, v28, s43 dst_sel:DWORD dst_unused:UNUSED_PAD src0_sel:WORD_0 src1_sel:DWORD
	v_mul_u32_u24_sdwa v224, v32, s43 dst_sel:DWORD dst_unused:UNUSED_PAD src0_sel:WORD_0 src1_sel:DWORD
	v_pk_mul_f16 v26, v26, v225
	v_pk_fma_f16 v223, v226, v224, v223
	v_pk_fma_f16 v221, v26, v31, v221
	;; [unrolled: 1-line block ×4, first 2 shown]
	v_mul_u32_u24_sdwa v28, v28, s43 dst_sel:DWORD dst_unused:UNUSED_PAD src0_sel:WORD_1 src1_sel:DWORD
	s_waitcnt vmcnt(5)
	v_mul_u32_u24_e32 v219, 0x10001, v219
	s_waitcnt vmcnt(4)
	v_pk_lshrrev_b16 v26, 8, v220 op_sel:[1,0] op_sel_hi:[0,0]
	v_lshrrev_b32_e32 v27, 16, v26
	v_cvt_f16_i16_sdwa v26, sext(v26) dst_sel:DWORD dst_unused:UNUSED_PAD src0_sel:BYTE_0
	v_cvt_f16_i16_sdwa v27, sext(v27) dst_sel:DWORD dst_unused:UNUSED_PAD src0_sel:BYTE_0
	v_pack_b32_f16 v26, v26, v27
	v_pk_mul_f16 v225, v26, v219
	v_pk_lshrrev_b16 v26, 8, v220 op_sel:[1,1] op_sel_hi:[0,1]
	v_lshrrev_b32_e32 v27, 16, v26
	v_cvt_f16_i16_sdwa v220, sext(v26) dst_sel:DWORD dst_unused:UNUSED_PAD src0_sel:BYTE_0
	v_add_co_u32_e32 v26, vcc, s27, v146
	v_cvt_f16_i16_sdwa v226, sext(v27) dst_sel:DWORD dst_unused:UNUSED_PAD src0_sel:BYTE_0
	v_addc_co_u32_e32 v27, vcc, 0, v147, vcc
	v_add_co_u32_e32 v30, vcc, s27, v144
	v_addc_co_u32_e32 v31, vcc, 0, v145, vcc
	global_load_ushort v227, v[26:27], off
	global_load_dword v230, v[30:31], off offset:2
	v_pack_b32_f16 v26, v220, v226
	v_mul_u32_u24_sdwa v32, v32, s43 dst_sel:DWORD dst_unused:UNUSED_PAD src0_sel:WORD_1 src1_sel:DWORD
	v_pk_mul_f16 v26, v26, v219
	v_pk_fma_f16 v219, v225, v28, v222
	v_pk_fma_f16 v220, v225, v32, v223
	;; [unrolled: 1-line block ×4, first 2 shown]
	v_add_co_u32_e32 v26, vcc, s27, v142
	v_addc_co_u32_e32 v27, vcc, 0, v143, vcc
	v_add_co_u32_e32 v30, vcc, s27, v140
	v_addc_co_u32_e32 v31, vcc, 0, v141, vcc
	global_load_ushort v224, v[26:27], off
	global_load_dword v225, v[30:31], off offset:2
	s_waitcnt vmcnt(7)
	v_mul_u32_u24_e32 v223, 0x10001, v229
	v_mul_u32_u24_sdwa v221, v29, s43 dst_sel:DWORD dst_unused:UNUSED_PAD src0_sel:WORD_0 src1_sel:DWORD
	v_mul_u32_u24_sdwa v222, v33, s43 dst_sel:DWORD dst_unused:UNUSED_PAD src0_sel:WORD_0 src1_sel:DWORD
	s_waitcnt vmcnt(6)
	v_pk_lshrrev_b16 v26, 8, v232 op_sel:[1,0] op_sel_hi:[0,0]
	v_lshrrev_b32_e32 v27, 16, v26
	v_cvt_f16_i16_sdwa v26, sext(v26) dst_sel:DWORD dst_unused:UNUSED_PAD src0_sel:BYTE_0
	v_cvt_f16_i16_sdwa v27, sext(v27) dst_sel:DWORD dst_unused:UNUSED_PAD src0_sel:BYTE_0
	v_pack_b32_f16 v26, v26, v27
	v_pk_lshrrev_b16 v27, 8, v232 op_sel:[1,1] op_sel_hi:[0,1]
	v_lshrrev_b32_e32 v30, 16, v27
	v_cvt_f16_i16_sdwa v27, sext(v27) dst_sel:DWORD dst_unused:UNUSED_PAD src0_sel:BYTE_0
	v_cvt_f16_i16_sdwa v30, sext(v30) dst_sel:DWORD dst_unused:UNUSED_PAD src0_sel:BYTE_0
	v_pk_mul_f16 v26, v26, v223
	v_pack_b32_f16 v27, v27, v30
	v_pk_mul_f16 v27, v27, v223
	v_pk_fma_f16 v30, v26, v221, v219
	v_pk_fma_f16 v31, v26, v222, v220
	v_add_co_u32_e32 v26, vcc, s27, v138
	v_pk_fma_f16 v219, v27, v221, v28
	v_pk_fma_f16 v32, v27, v222, v32
	v_addc_co_u32_e32 v27, vcc, 0, v139, vcc
	v_add_co_u32_e32 v28, vcc, s27, v136
	v_mul_u32_u24_sdwa v220, v29, s43 dst_sel:DWORD dst_unused:UNUSED_PAD src0_sel:WORD_1 src1_sel:DWORD
	v_addc_co_u32_e32 v29, vcc, 0, v137, vcc
	global_load_ushort v223, v[26:27], off
	global_load_dword v226, v[28:29], off offset:2
	s_waitcnt vmcnt(7)
	v_mul_u32_u24_e32 v221, 0x10001, v228
	v_mul_u32_u24_sdwa v33, v33, s43 dst_sel:DWORD dst_unused:UNUSED_PAD src0_sel:WORD_1 src1_sel:DWORD
	s_waitcnt vmcnt(6)
	v_pk_lshrrev_b16 v26, 8, v231 op_sel:[1,0] op_sel_hi:[0,0]
	v_lshrrev_b32_e32 v27, 16, v26
	v_cvt_f16_i16_sdwa v26, sext(v26) dst_sel:DWORD dst_unused:UNUSED_PAD src0_sel:BYTE_0
	v_cvt_f16_i16_sdwa v27, sext(v27) dst_sel:DWORD dst_unused:UNUSED_PAD src0_sel:BYTE_0
	v_pack_b32_f16 v26, v26, v27
	v_pk_lshrrev_b16 v27, 8, v231 op_sel:[1,1] op_sel_hi:[0,1]
	v_lshrrev_b32_e32 v28, 16, v27
	v_cvt_f16_i16_sdwa v27, sext(v27) dst_sel:DWORD dst_unused:UNUSED_PAD src0_sel:BYTE_0
	v_cvt_f16_i16_sdwa v28, sext(v28) dst_sel:DWORD dst_unused:UNUSED_PAD src0_sel:BYTE_0
	v_pk_mul_f16 v26, v26, v221
	v_pack_b32_f16 v27, v27, v28
	v_pk_mul_f16 v27, v27, v221
	v_pk_fma_f16 v221, v26, v220, v30
	v_pk_fma_f16 v222, v26, v33, v31
	v_add_co_u32_e32 v26, vcc, s27, v134
	v_pk_fma_f16 v219, v27, v220, v219
	v_pk_fma_f16 v220, v27, v33, v32
	v_addc_co_u32_e32 v27, vcc, 0, v135, vcc
	v_add_co_u32_e32 v28, vcc, s27, v132
	ds_read_b128 v[30:33], v211 offset:288
	v_addc_co_u32_e32 v29, vcc, 0, v133, vcc
	global_load_ushort v229, v[26:27], off
	global_load_dword v231, v[28:29], off offset:2
	v_mul_u32_u24_sdwa v228, v22, s43 dst_sel:DWORD dst_unused:UNUSED_PAD src0_sel:WORD_0 src1_sel:DWORD
	s_waitcnt lgkmcnt(0)
	v_mul_u32_u24_sdwa v232, v30, s43 dst_sel:DWORD dst_unused:UNUSED_PAD src0_sel:WORD_0 src1_sel:DWORD
	ds_read_b128 v[26:29], v211 offset:304
	v_mul_u32_u24_sdwa v22, v22, s43 dst_sel:DWORD dst_unused:UNUSED_PAD src0_sel:WORD_1 src1_sel:DWORD
	v_mul_u32_u24_sdwa v30, v30, s43 dst_sel:DWORD dst_unused:UNUSED_PAD src0_sel:WORD_1 src1_sel:DWORD
	s_waitcnt vmcnt(7)
	v_mul_u32_u24_e32 v227, 0x10001, v227
	s_waitcnt vmcnt(6)
	v_pk_lshrrev_b16 v233, 8, v230 op_sel:[1,0] op_sel_hi:[0,0]
	v_lshrrev_b32_e32 v234, 16, v233
	v_cvt_f16_i16_sdwa v233, sext(v233) dst_sel:DWORD dst_unused:UNUSED_PAD src0_sel:BYTE_0
	v_cvt_f16_i16_sdwa v234, sext(v234) dst_sel:DWORD dst_unused:UNUSED_PAD src0_sel:BYTE_0
	v_pk_lshrrev_b16 v230, 8, v230 op_sel:[1,1] op_sel_hi:[0,1]
	v_pack_b32_f16 v233, v233, v234
	v_lshrrev_b32_e32 v234, 16, v230
	v_cvt_f16_i16_sdwa v230, sext(v230) dst_sel:DWORD dst_unused:UNUSED_PAD src0_sel:BYTE_0
	v_cvt_f16_i16_sdwa v234, sext(v234) dst_sel:DWORD dst_unused:UNUSED_PAD src0_sel:BYTE_0
	v_pack_b32_f16 v230, v230, v234
	v_pk_mul_f16 v233, v233, v227
	v_pk_mul_f16 v227, v230, v227
	v_pk_fma_f16 v230, v233, v228, v221
	v_pk_fma_f16 v228, v227, v228, v219
	;; [unrolled: 1-line block ×3, first 2 shown]
	s_waitcnt vmcnt(5)
	v_mul_u32_u24_e32 v224, 0x10001, v224
	s_waitcnt vmcnt(4)
	v_pk_lshrrev_b16 v219, 8, v225 op_sel:[1,0] op_sel_hi:[0,0]
	v_lshrrev_b32_e32 v220, 16, v219
	v_cvt_f16_i16_sdwa v219, sext(v219) dst_sel:DWORD dst_unused:UNUSED_PAD src0_sel:BYTE_0
	v_cvt_f16_i16_sdwa v220, sext(v220) dst_sel:DWORD dst_unused:UNUSED_PAD src0_sel:BYTE_0
	v_pack_b32_f16 v219, v219, v220
	v_pk_fma_f16 v233, v233, v232, v222
	v_pk_mul_f16 v232, v219, v224
	v_add_co_u32_e32 v219, vcc, s27, v130
	v_addc_co_u32_e32 v220, vcc, 0, v131, vcc
	v_pk_lshrrev_b16 v225, 8, v225 op_sel:[1,1] op_sel_hi:[0,1]
	v_add_co_u32_e32 v221, vcc, s27, v128
	v_lshrrev_b32_e32 v234, 16, v225
	v_addc_co_u32_e32 v222, vcc, 0, v129, vcc
	global_load_ushort v235, v[219:220], off
	global_load_dword v236, v[221:222], off offset:2
	v_cvt_f16_i16_sdwa v219, sext(v225) dst_sel:DWORD dst_unused:UNUSED_PAD src0_sel:BYTE_0
	v_cvt_f16_i16_sdwa v220, sext(v234) dst_sel:DWORD dst_unused:UNUSED_PAD src0_sel:BYTE_0
	v_pack_b32_f16 v219, v219, v220
	v_pk_mul_f16 v219, v219, v224
	v_pk_fma_f16 v224, v232, v22, v230
	v_pk_fma_f16 v225, v232, v30, v233
	;; [unrolled: 1-line block ×4, first 2 shown]
	v_mul_u32_u24_sdwa v227, v23, s43 dst_sel:DWORD dst_unused:UNUSED_PAD src0_sel:WORD_0 src1_sel:DWORD
	v_mul_u32_u24_sdwa v228, v31, s43 dst_sel:DWORD dst_unused:UNUSED_PAD src0_sel:WORD_0 src1_sel:DWORD
	s_waitcnt vmcnt(5)
	v_mul_u32_u24_e32 v223, 0x10001, v223
	s_waitcnt vmcnt(4)
	v_pk_lshrrev_b16 v219, 8, v226 op_sel:[1,0] op_sel_hi:[0,0]
	v_lshrrev_b32_e32 v220, 16, v219
	v_cvt_f16_i16_sdwa v219, sext(v219) dst_sel:DWORD dst_unused:UNUSED_PAD src0_sel:BYTE_0
	v_cvt_f16_i16_sdwa v220, sext(v220) dst_sel:DWORD dst_unused:UNUSED_PAD src0_sel:BYTE_0
	v_pack_b32_f16 v219, v219, v220
	v_pk_mul_f16 v230, v219, v223
	v_add_co_u32_e32 v219, vcc, s27, v126
	v_addc_co_u32_e32 v220, vcc, 0, v127, vcc
	v_add_co_u32_e32 v221, vcc, s27, v124
	v_pk_lshrrev_b16 v226, 8, v226 op_sel:[1,1] op_sel_hi:[0,1]
	v_addc_co_u32_e32 v222, vcc, 0, v125, vcc
	global_load_ushort v219, v[219:220], off
	s_nop 0
	global_load_dword v220, v[221:222], off offset:2
	v_lshrrev_b32_e32 v232, 16, v226
	v_cvt_f16_i16_sdwa v221, sext(v226) dst_sel:DWORD dst_unused:UNUSED_PAD src0_sel:BYTE_0
	v_cvt_f16_i16_sdwa v222, sext(v232) dst_sel:DWORD dst_unused:UNUSED_PAD src0_sel:BYTE_0
	v_pack_b32_f16 v221, v221, v222
	v_pk_mul_f16 v221, v221, v223
	v_pk_fma_f16 v222, v230, v227, v224
	v_pk_fma_f16 v224, v221, v227, v22
	;; [unrolled: 1-line block ×3, first 2 shown]
	v_mul_u32_u24_sdwa v225, v23, s43 dst_sel:DWORD dst_unused:UNUSED_PAD src0_sel:WORD_1 src1_sel:DWORD
	v_pk_fma_f16 v221, v221, v228, v30
	v_mul_u32_u24_sdwa v226, v31, s43 dst_sel:DWORD dst_unused:UNUSED_PAD src0_sel:WORD_1 src1_sel:DWORD
	s_waitcnt vmcnt(5)
	v_mul_u32_u24_e32 v227, 0x10001, v229
	s_waitcnt vmcnt(4)
	v_pk_lshrrev_b16 v22, 8, v231 op_sel:[1,0] op_sel_hi:[0,0]
	v_lshrrev_b32_e32 v23, 16, v22
	v_cvt_f16_i16_sdwa v22, sext(v22) dst_sel:DWORD dst_unused:UNUSED_PAD src0_sel:BYTE_0
	v_cvt_f16_i16_sdwa v23, sext(v23) dst_sel:DWORD dst_unused:UNUSED_PAD src0_sel:BYTE_0
	v_pack_b32_f16 v22, v22, v23
	v_pk_mul_f16 v228, v22, v227
	v_add_co_u32_e32 v22, vcc, s27, v122
	v_addc_co_u32_e32 v23, vcc, 0, v123, vcc
	v_add_co_u32_e32 v30, vcc, s27, v120
	v_pk_lshrrev_b16 v229, 8, v231 op_sel:[1,1] op_sel_hi:[0,1]
	v_addc_co_u32_e32 v31, vcc, 0, v121, vcc
	global_load_ushort v231, v[22:23], off
	global_load_dword v232, v[30:31], off offset:2
	v_lshrrev_b32_e32 v230, 16, v229
	v_cvt_f16_i16_sdwa v22, sext(v229) dst_sel:DWORD dst_unused:UNUSED_PAD src0_sel:BYTE_0
	v_cvt_f16_i16_sdwa v23, sext(v230) dst_sel:DWORD dst_unused:UNUSED_PAD src0_sel:BYTE_0
	v_pack_b32_f16 v22, v22, v23
	v_pk_mul_f16 v22, v22, v227
	v_pk_fma_f16 v224, v22, v225, v224
	v_pk_fma_f16 v221, v22, v226, v221
	v_add_co_u32_e32 v22, vcc, s27, v118
	v_addc_co_u32_e32 v23, vcc, 0, v119, vcc
	v_add_co_u32_e32 v30, vcc, s27, v116
	v_pk_fma_f16 v223, v228, v226, v223
	v_addc_co_u32_e32 v31, vcc, 0, v117, vcc
	global_load_ushort v226, v[22:23], off
	global_load_dword v227, v[30:31], off offset:2
	v_pk_fma_f16 v222, v228, v225, v222
	v_mul_u32_u24_sdwa v22, v32, s43 dst_sel:DWORD dst_unused:UNUSED_PAD src0_sel:WORD_0 src1_sel:DWORD
	v_mul_u32_u24_sdwa v225, v24, s43 dst_sel:DWORD dst_unused:UNUSED_PAD src0_sel:WORD_0 src1_sel:DWORD
	v_mul_u32_u24_sdwa v24, v24, s43 dst_sel:DWORD dst_unused:UNUSED_PAD src0_sel:WORD_1 src1_sel:DWORD
	s_waitcnt vmcnt(7)
	v_mul_u32_u24_e32 v23, 0x10001, v235
	s_waitcnt vmcnt(6)
	v_pk_lshrrev_b16 v30, 8, v236 op_sel:[1,0] op_sel_hi:[0,0]
	v_lshrrev_b32_e32 v31, 16, v30
	v_cvt_f16_i16_sdwa v30, sext(v30) dst_sel:DWORD dst_unused:UNUSED_PAD src0_sel:BYTE_0
	v_cvt_f16_i16_sdwa v31, sext(v31) dst_sel:DWORD dst_unused:UNUSED_PAD src0_sel:BYTE_0
	v_pack_b32_f16 v30, v30, v31
	v_pk_lshrrev_b16 v31, 8, v236 op_sel:[1,1] op_sel_hi:[0,1]
	v_lshrrev_b32_e32 v228, 16, v31
	v_cvt_f16_i16_sdwa v31, sext(v31) dst_sel:DWORD dst_unused:UNUSED_PAD src0_sel:BYTE_0
	v_cvt_f16_i16_sdwa v228, sext(v228) dst_sel:DWORD dst_unused:UNUSED_PAD src0_sel:BYTE_0
	v_pack_b32_f16 v31, v31, v228
	v_pk_mul_f16 v30, v30, v23
	v_pk_mul_f16 v23, v31, v23
	v_pk_fma_f16 v223, v30, v22, v223
	v_pk_fma_f16 v221, v23, v22, v221
	v_add_co_u32_e32 v22, vcc, s27, v113
	v_pk_fma_f16 v224, v23, v225, v224
	v_addc_co_u32_e32 v23, vcc, 0, v114, vcc
	v_pk_fma_f16 v222, v30, v225, v222
	v_add_co_u32_e32 v30, vcc, s27, v111
	v_addc_co_u32_e32 v31, vcc, 0, v112, vcc
	global_load_ushort v225, v[22:23], off
	global_load_dword v228, v[30:31], off offset:2
	v_mul_u32_u24_sdwa v22, v32, s43 dst_sel:DWORD dst_unused:UNUSED_PAD src0_sel:WORD_1 src1_sel:DWORD
	s_waitcnt vmcnt(7)
	v_mul_u32_u24_e32 v23, 0x10001, v219
	s_waitcnt vmcnt(6)
	v_pk_lshrrev_b16 v30, 8, v220 op_sel:[1,0] op_sel_hi:[0,0]
	v_lshrrev_b32_e32 v31, 16, v30
	v_cvt_f16_i16_sdwa v30, sext(v30) dst_sel:DWORD dst_unused:UNUSED_PAD src0_sel:BYTE_0
	v_cvt_f16_i16_sdwa v31, sext(v31) dst_sel:DWORD dst_unused:UNUSED_PAD src0_sel:BYTE_0
	v_pack_b32_f16 v30, v30, v31
	v_pk_lshrrev_b16 v31, 8, v220 op_sel:[1,1] op_sel_hi:[0,1]
	v_lshrrev_b32_e32 v32, 16, v31
	v_cvt_f16_i16_sdwa v31, sext(v31) dst_sel:DWORD dst_unused:UNUSED_PAD src0_sel:BYTE_0
	v_cvt_f16_i16_sdwa v32, sext(v32) dst_sel:DWORD dst_unused:UNUSED_PAD src0_sel:BYTE_0
	v_pack_b32_f16 v31, v31, v32
	v_pk_mul_f16 v30, v30, v23
	v_pk_mul_f16 v23, v31, v23
	v_pk_fma_f16 v219, v30, v22, v223
	v_pk_fma_f16 v220, v23, v22, v221
	v_add_co_u32_e32 v22, vcc, s27, v109
	v_pk_fma_f16 v32, v30, v24, v222
	v_pk_fma_f16 v24, v23, v24, v224
	v_addc_co_u32_e32 v23, vcc, 0, v110, vcc
	v_add_co_u32_e32 v30, vcc, s27, v107
	v_addc_co_u32_e32 v31, vcc, 0, v108, vcc
	global_load_ushort v222, v[22:23], off
	s_nop 0
	global_load_dword v30, v[30:31], off offset:2
	v_mul_u32_u24_sdwa v221, v25, s43 dst_sel:DWORD dst_unused:UNUSED_PAD src0_sel:WORD_0 src1_sel:DWORD
	v_mul_u32_u24_sdwa v22, v33, s43 dst_sel:DWORD dst_unused:UNUSED_PAD src0_sel:WORD_0 src1_sel:DWORD
	s_waitcnt vmcnt(7)
	v_mul_u32_u24_e32 v23, 0x10001, v231
	s_waitcnt vmcnt(6)
	v_pk_lshrrev_b16 v31, 8, v232 op_sel:[1,0] op_sel_hi:[0,0]
	v_lshrrev_b32_e32 v223, 16, v31
	v_cvt_f16_i16_sdwa v31, sext(v31) dst_sel:DWORD dst_unused:UNUSED_PAD src0_sel:BYTE_0
	v_cvt_f16_i16_sdwa v223, sext(v223) dst_sel:DWORD dst_unused:UNUSED_PAD src0_sel:BYTE_0
	v_pack_b32_f16 v31, v31, v223
	v_pk_lshrrev_b16 v223, 8, v232 op_sel:[1,1] op_sel_hi:[0,1]
	v_lshrrev_b32_e32 v224, 16, v223
	v_cvt_f16_i16_sdwa v223, sext(v223) dst_sel:DWORD dst_unused:UNUSED_PAD src0_sel:BYTE_0
	v_cvt_f16_i16_sdwa v224, sext(v224) dst_sel:DWORD dst_unused:UNUSED_PAD src0_sel:BYTE_0
	v_pack_b32_f16 v223, v223, v224
	v_pk_mul_f16 v31, v31, v23
	v_pk_mul_f16 v23, v223, v23
	v_pk_fma_f16 v32, v31, v221, v32
	v_pk_fma_f16 v31, v31, v22, v219
	;; [unrolled: 1-line block ×4, first 2 shown]
	s_waitcnt vmcnt(5)
	v_mul_u32_u24_e32 v223, 0x10001, v226
	s_waitcnt vmcnt(4)
	v_pk_lshrrev_b16 v22, 8, v227 op_sel:[1,0] op_sel_hi:[0,0]
	v_lshrrev_b32_e32 v23, 16, v22
	v_cvt_f16_i16_sdwa v22, sext(v22) dst_sel:DWORD dst_unused:UNUSED_PAD src0_sel:BYTE_0
	v_cvt_f16_i16_sdwa v23, sext(v23) dst_sel:DWORD dst_unused:UNUSED_PAD src0_sel:BYTE_0
	v_pack_b32_f16 v22, v22, v23
	v_pk_mul_f16 v224, v22, v223
	v_add_co_u32_e32 v22, vcc, s27, v105
	v_addc_co_u32_e32 v23, vcc, 0, v106, vcc
	v_add_co_u32_e32 v24, vcc, s27, v103
	v_mul_u32_u24_sdwa v221, v25, s43 dst_sel:DWORD dst_unused:UNUSED_PAD src0_sel:WORD_1 src1_sel:DWORD
	v_addc_co_u32_e32 v25, vcc, 0, v104, vcc
	global_load_ushort v229, v[22:23], off
	global_load_dword v230, v[24:25], off offset:2
	v_pk_lshrrev_b16 v226, 8, v227 op_sel:[1,1] op_sel_hi:[0,1]
	v_lshrrev_b32_e32 v227, 16, v226
	v_cvt_f16_i16_sdwa v22, sext(v226) dst_sel:DWORD dst_unused:UNUSED_PAD src0_sel:BYTE_0
	v_cvt_f16_i16_sdwa v23, sext(v227) dst_sel:DWORD dst_unused:UNUSED_PAD src0_sel:BYTE_0
	v_pack_b32_f16 v22, v22, v23
	v_pk_mul_f16 v22, v22, v223
	v_mul_u32_u24_sdwa v33, v33, s43 dst_sel:DWORD dst_unused:UNUSED_PAD src0_sel:WORD_1 src1_sel:DWORD
	v_pk_fma_f16 v25, v22, v221, v219
	v_pk_fma_f16 v22, v22, v33, v220
	;; [unrolled: 1-line block ×4, first 2 shown]
	v_mul_u32_u24_sdwa v31, v18, s43 dst_sel:DWORD dst_unused:UNUSED_PAD src0_sel:WORD_0 src1_sel:DWORD
	s_waitcnt lgkmcnt(0)
	v_mul_u32_u24_sdwa v32, v26, s43 dst_sel:DWORD dst_unused:UNUSED_PAD src0_sel:WORD_0 src1_sel:DWORD
	v_mul_u32_u24_sdwa v18, v18, s43 dst_sel:DWORD dst_unused:UNUSED_PAD src0_sel:WORD_1 src1_sel:DWORD
	v_mul_u32_u24_sdwa v26, v26, s43 dst_sel:DWORD dst_unused:UNUSED_PAD src0_sel:WORD_1 src1_sel:DWORD
	s_waitcnt vmcnt(5)
	v_mul_u32_u24_e32 v33, 0x10001, v225
	s_waitcnt vmcnt(4)
	v_pk_lshrrev_b16 v219, 8, v228 op_sel:[1,0] op_sel_hi:[0,0]
	v_lshrrev_b32_e32 v220, 16, v219
	v_cvt_f16_i16_sdwa v219, sext(v219) dst_sel:DWORD dst_unused:UNUSED_PAD src0_sel:BYTE_0
	v_cvt_f16_i16_sdwa v220, sext(v220) dst_sel:DWORD dst_unused:UNUSED_PAD src0_sel:BYTE_0
	v_pack_b32_f16 v219, v219, v220
	v_pk_lshrrev_b16 v220, 8, v228 op_sel:[1,1] op_sel_hi:[0,1]
	v_lshrrev_b32_e32 v221, 16, v220
	v_cvt_f16_i16_sdwa v220, sext(v220) dst_sel:DWORD dst_unused:UNUSED_PAD src0_sel:BYTE_0
	v_cvt_f16_i16_sdwa v221, sext(v221) dst_sel:DWORD dst_unused:UNUSED_PAD src0_sel:BYTE_0
	v_pack_b32_f16 v220, v220, v221
	v_pk_mul_f16 v219, v219, v33
	v_pk_mul_f16 v33, v220, v33
	v_pk_fma_f16 v220, v219, v31, v23
	v_pk_fma_f16 v219, v219, v32, v24
	;; [unrolled: 1-line block ×3, first 2 shown]
	v_add_co_u32_e32 v22, vcc, s27, v101
	v_addc_co_u32_e32 v23, vcc, 0, v102, vcc
	v_add_co_u32_e32 v24, vcc, s27, v98
	v_pk_fma_f16 v31, v33, v31, v25
	v_addc_co_u32_e32 v25, vcc, 0, v99, vcc
	global_load_ushort v33, v[22:23], off
	global_load_dword v221, v[24:25], off offset:2
	s_waitcnt vmcnt(5)
	v_mul_u32_u24_e32 v222, 0x10001, v222
	s_waitcnt vmcnt(4)
	v_pk_lshrrev_b16 v22, 8, v30 op_sel:[1,0] op_sel_hi:[0,0]
	v_lshrrev_b32_e32 v23, 16, v22
	v_cvt_f16_i16_sdwa v22, sext(v22) dst_sel:DWORD dst_unused:UNUSED_PAD src0_sel:BYTE_0
	v_cvt_f16_i16_sdwa v23, sext(v23) dst_sel:DWORD dst_unused:UNUSED_PAD src0_sel:BYTE_0
	v_pack_b32_f16 v22, v22, v23
	v_pk_mul_f16 v223, v22, v222
	v_add_co_u32_e32 v22, vcc, s27, v96
	v_addc_co_u32_e32 v23, vcc, 0, v97, vcc
	v_add_co_u32_e32 v24, vcc, s27, v94
	v_pk_lshrrev_b16 v30, 8, v30 op_sel:[1,1] op_sel_hi:[0,1]
	v_addc_co_u32_e32 v25, vcc, 0, v95, vcc
	global_load_ushort v225, v[22:23], off
	global_load_dword v226, v[24:25], off offset:2
	v_lshrrev_b32_e32 v224, 16, v30
	v_cvt_f16_i16_sdwa v22, sext(v30) dst_sel:DWORD dst_unused:UNUSED_PAD src0_sel:BYTE_0
	v_cvt_f16_i16_sdwa v23, sext(v224) dst_sel:DWORD dst_unused:UNUSED_PAD src0_sel:BYTE_0
	v_pack_b32_f16 v22, v22, v23
	v_pk_mul_f16 v22, v22, v222
	v_pk_fma_f16 v30, v223, v18, v220
	v_pk_fma_f16 v219, v223, v26, v219
	;; [unrolled: 1-line block ×4, first 2 shown]
	v_add_co_u32_e32 v22, vcc, s27, v92
	v_addc_co_u32_e32 v23, vcc, 0, v93, vcc
	v_add_co_u32_e32 v24, vcc, s27, v90
	v_addc_co_u32_e32 v25, vcc, 0, v91, vcc
	global_load_ushort v32, v[22:23], off
	global_load_dword v220, v[24:25], off offset:2
	v_mul_u32_u24_sdwa v31, v19, s43 dst_sel:DWORD dst_unused:UNUSED_PAD src0_sel:WORD_0 src1_sel:DWORD
	s_waitcnt vmcnt(7)
	v_mul_u32_u24_e32 v223, 0x10001, v229
	s_waitcnt vmcnt(6)
	v_pk_lshrrev_b16 v22, 8, v230 op_sel:[1,0] op_sel_hi:[0,0]
	v_lshrrev_b32_e32 v23, 16, v22
	v_cvt_f16_i16_sdwa v22, sext(v22) dst_sel:DWORD dst_unused:UNUSED_PAD src0_sel:BYTE_0
	v_cvt_f16_i16_sdwa v23, sext(v23) dst_sel:DWORD dst_unused:UNUSED_PAD src0_sel:BYTE_0
	v_pack_b32_f16 v22, v22, v23
	v_pk_mul_f16 v224, v22, v223
	v_add_co_u32_e32 v22, vcc, s27, v88
	v_addc_co_u32_e32 v23, vcc, 0, v89, vcc
	v_add_co_u32_e32 v24, vcc, s27, v86
	v_pk_lshrrev_b16 v227, 8, v230 op_sel:[1,1] op_sel_hi:[0,1]
	v_addc_co_u32_e32 v25, vcc, 0, v87, vcc
	global_load_ushort v228, v[22:23], off
	global_load_dword v229, v[24:25], off offset:2
	v_lshrrev_b32_e32 v22, 16, v227
	v_cvt_f16_i16_sdwa v23, sext(v227) dst_sel:DWORD dst_unused:UNUSED_PAD src0_sel:BYTE_0
	v_cvt_f16_i16_sdwa v22, sext(v22) dst_sel:DWORD dst_unused:UNUSED_PAD src0_sel:BYTE_0
	v_pack_b32_f16 v22, v23, v22
	v_mul_u32_u24_sdwa v222, v27, s43 dst_sel:DWORD dst_unused:UNUSED_PAD src0_sel:WORD_0 src1_sel:DWORD
	v_pk_mul_f16 v22, v22, v223
	v_pk_fma_f16 v18, v22, v31, v18
	v_pk_fma_f16 v26, v22, v222, v26
	v_add_co_u32_e32 v22, vcc, s27, v84
	v_addc_co_u32_e32 v23, vcc, 0, v85, vcc
	v_add_co_u32_e32 v24, vcc, s27, v82
	v_addc_co_u32_e32 v25, vcc, 0, v83, vcc
	global_load_ushort v22, v[22:23], off
	s_nop 0
	global_load_dword v23, v[24:25], off offset:2
	v_mul_u32_u24_sdwa v24, v27, s43 dst_sel:DWORD dst_unused:UNUSED_PAD src0_sel:WORD_1 src1_sel:DWORD
	v_pk_fma_f16 v30, v224, v31, v30
	v_pk_fma_f16 v219, v224, v222, v219
	v_mul_u32_u24_sdwa v19, v19, s43 dst_sel:DWORD dst_unused:UNUSED_PAD src0_sel:WORD_1 src1_sel:DWORD
	v_add_co_u32_e32 v58, vcc, s38, v58
	v_addc_co_u32_e32 v59, vcc, 0, v59, vcc
	s_waitcnt vmcnt(8)
	v_pk_lshrrev_b16 v27, 8, v221 op_sel:[1,0] op_sel_hi:[0,0]
	v_lshrrev_b32_e32 v31, 16, v27
	v_cvt_f16_i16_sdwa v27, sext(v27) dst_sel:DWORD dst_unused:UNUSED_PAD src0_sel:BYTE_0
	v_cvt_f16_i16_sdwa v31, sext(v31) dst_sel:DWORD dst_unused:UNUSED_PAD src0_sel:BYTE_0
	v_pack_b32_f16 v27, v27, v31
	v_pk_lshrrev_b16 v31, 8, v221 op_sel:[1,1] op_sel_hi:[0,1]
	v_mul_u32_u24_e32 v25, 0x10001, v33
	v_lshrrev_b32_e32 v33, 16, v31
	v_cvt_f16_i16_sdwa v31, sext(v31) dst_sel:DWORD dst_unused:UNUSED_PAD src0_sel:BYTE_0
	v_cvt_f16_i16_sdwa v33, sext(v33) dst_sel:DWORD dst_unused:UNUSED_PAD src0_sel:BYTE_0
	v_pack_b32_f16 v31, v31, v33
	v_pk_mul_f16 v27, v27, v25
	v_pk_mul_f16 v25, v31, v25
	v_pk_fma_f16 v30, v27, v19, v30
	v_pk_fma_f16 v27, v27, v24, v219
	;; [unrolled: 1-line block ×4, first 2 shown]
	s_waitcnt vmcnt(7)
	v_mul_u32_u24_e32 v26, 0x10001, v225
	s_waitcnt vmcnt(6)
	v_pk_lshrrev_b16 v31, 8, v226 op_sel:[1,0] op_sel_hi:[0,0]
	v_lshrrev_b32_e32 v33, 16, v31
	v_cvt_f16_i16_sdwa v31, sext(v31) dst_sel:DWORD dst_unused:UNUSED_PAD src0_sel:BYTE_0
	v_cvt_f16_i16_sdwa v33, sext(v33) dst_sel:DWORD dst_unused:UNUSED_PAD src0_sel:BYTE_0
	v_pack_b32_f16 v31, v31, v33
	v_pk_lshrrev_b16 v33, 8, v226 op_sel:[1,1] op_sel_hi:[0,1]
	v_lshrrev_b32_e32 v219, 16, v33
	v_cvt_f16_i16_sdwa v33, sext(v33) dst_sel:DWORD dst_unused:UNUSED_PAD src0_sel:BYTE_0
	v_cvt_f16_i16_sdwa v219, sext(v219) dst_sel:DWORD dst_unused:UNUSED_PAD src0_sel:BYTE_0
	v_pack_b32_f16 v33, v33, v219
	v_mul_u32_u24_sdwa v24, v20, s43 dst_sel:DWORD dst_unused:UNUSED_PAD src0_sel:WORD_0 src1_sel:DWORD
	v_mul_u32_u24_sdwa v25, v28, s43 dst_sel:DWORD dst_unused:UNUSED_PAD src0_sel:WORD_0 src1_sel:DWORD
	v_pk_mul_f16 v31, v31, v26
	v_pk_mul_f16 v26, v33, v26
	v_pk_fma_f16 v18, v26, v24, v18
	v_pk_fma_f16 v19, v26, v25, v19
	;; [unrolled: 1-line block ×3, first 2 shown]
	v_mul_u32_u24_sdwa v24, v28, s43 dst_sel:DWORD dst_unused:UNUSED_PAD src0_sel:WORD_1 src1_sel:DWORD
	s_waitcnt vmcnt(4)
	v_pk_lshrrev_b16 v26, 8, v220 op_sel:[1,0] op_sel_hi:[0,0]
	v_lshrrev_b32_e32 v28, 16, v26
	v_cvt_f16_i16_sdwa v26, sext(v26) dst_sel:DWORD dst_unused:UNUSED_PAD src0_sel:BYTE_0
	v_cvt_f16_i16_sdwa v28, sext(v28) dst_sel:DWORD dst_unused:UNUSED_PAD src0_sel:BYTE_0
	v_pack_b32_f16 v26, v26, v28
	v_pk_lshrrev_b16 v28, 8, v220 op_sel:[1,1] op_sel_hi:[0,1]
	v_pk_fma_f16 v27, v31, v25, v27
	v_lshrrev_b32_e32 v31, 16, v28
	v_mul_u32_u24_e32 v25, 0x10001, v32
	v_cvt_f16_i16_sdwa v28, sext(v28) dst_sel:DWORD dst_unused:UNUSED_PAD src0_sel:BYTE_0
	v_cvt_f16_i16_sdwa v31, sext(v31) dst_sel:DWORD dst_unused:UNUSED_PAD src0_sel:BYTE_0
	v_mul_u32_u24_sdwa v20, v20, s43 dst_sel:DWORD dst_unused:UNUSED_PAD src0_sel:WORD_1 src1_sel:DWORD
	v_pk_mul_f16 v26, v26, v25
	v_pack_b32_f16 v28, v28, v31
	v_pk_mul_f16 v25, v28, v25
	v_pk_fma_f16 v28, v26, v20, v30
	v_pk_fma_f16 v26, v26, v24, v27
	;; [unrolled: 1-line block ×3, first 2 shown]
	s_waitcnt vmcnt(2)
	v_pk_lshrrev_b16 v27, 8, v229 op_sel:[1,0] op_sel_hi:[0,0]
	v_lshrrev_b32_e32 v30, 16, v27
	v_cvt_f16_i16_sdwa v27, sext(v27) dst_sel:DWORD dst_unused:UNUSED_PAD src0_sel:BYTE_0
	v_cvt_f16_i16_sdwa v30, sext(v30) dst_sel:DWORD dst_unused:UNUSED_PAD src0_sel:BYTE_0
	v_pack_b32_f16 v27, v27, v30
	v_pk_lshrrev_b16 v30, 8, v229 op_sel:[1,1] op_sel_hi:[0,1]
	v_lshrrev_b32_e32 v31, 16, v30
	v_cvt_f16_i16_sdwa v30, sext(v30) dst_sel:DWORD dst_unused:UNUSED_PAD src0_sel:BYTE_0
	v_cvt_f16_i16_sdwa v31, sext(v31) dst_sel:DWORD dst_unused:UNUSED_PAD src0_sel:BYTE_0
	v_pk_fma_f16 v19, v25, v24, v19
	v_mul_u32_u24_e32 v25, 0x10001, v228
	v_pack_b32_f16 v30, v30, v31
	v_mul_u32_u24_sdwa v24, v29, s43 dst_sel:DWORD dst_unused:UNUSED_PAD src0_sel:WORD_0 src1_sel:DWORD
	v_pk_mul_f16 v27, v27, v25
	v_pk_mul_f16 v25, v30, v25
	v_mul_u32_u24_sdwa v20, v21, s43 dst_sel:DWORD dst_unused:UNUSED_PAD src0_sel:WORD_0 src1_sel:DWORD
	v_pk_fma_f16 v26, v27, v24, v26
	v_pk_fma_f16 v19, v25, v24, v19
	v_mul_u32_u24_sdwa v24, v21, s43 dst_sel:DWORD dst_unused:UNUSED_PAD src0_sel:WORD_1 src1_sel:DWORD
	s_waitcnt vmcnt(0)
	v_pk_lshrrev_b16 v21, 8, v23 op_sel:[1,0] op_sel_hi:[0,0]
	v_pk_fma_f16 v28, v27, v20, v28
	v_pk_fma_f16 v20, v25, v20, v18
	v_mul_u32_u24_e32 v18, 0x10001, v22
	v_lshrrev_b32_e32 v22, 16, v21
	v_cvt_f16_i16_sdwa v21, sext(v21) dst_sel:DWORD dst_unused:UNUSED_PAD src0_sel:BYTE_0
	v_cvt_f16_i16_sdwa v22, sext(v22) dst_sel:DWORD dst_unused:UNUSED_PAD src0_sel:BYTE_0
	v_pack_b32_f16 v21, v21, v22
	v_pk_mul_f16 v22, v21, v18
	v_pk_lshrrev_b16 v21, 8, v23 op_sel:[1,1] op_sel_hi:[0,1]
	v_lshrrev_b32_e32 v23, 16, v21
	v_cvt_f16_i16_sdwa v21, sext(v21) dst_sel:DWORD dst_unused:UNUSED_PAD src0_sel:BYTE_0
	v_cvt_f16_i16_sdwa v23, sext(v23) dst_sel:DWORD dst_unused:UNUSED_PAD src0_sel:BYTE_0
	v_mul_u32_u24_sdwa v25, v29, s43 dst_sel:DWORD dst_unused:UNUSED_PAD src0_sel:WORD_1 src1_sel:DWORD
	v_pack_b32_f16 v21, v21, v23
	v_pk_mul_f16 v23, v21, v18
	v_pk_fma_f16 v21, v22, v24, v28
	v_pk_fma_f16 v18, v22, v25, v26
	v_mov_b32_e32 v22, s37
	v_add_co_u32_e32 v60, vcc, s36, v60
	v_addc_co_u32_e32 v61, vcc, v61, v22, vcc
	v_add_co_u32_e32 v212, vcc, s36, v212
	v_addc_co_u32_e32 v213, vcc, v213, v22, vcc
	;; [unrolled: 2-line block ×73, first 2 shown]
	v_add_co_u32_e32 v204, vcc, s39, v204
	v_pk_fma_f16 v20, v23, v24, v20
	v_pk_fma_f16 v19, v23, v25, v19
	v_addc_co_u32_e32 v205, vcc, 0, v205, vcc
	s_cbranch_scc1 .LBB19_36
; %bb.34:                               ;   in Loop: Header=BB19_17 Depth=1
	v_mov_b32_e32 v23, v50
	v_mov_b32_e32 v22, v51
	s_branch .LBB19_17
.LBB19_35:
	v_mov_b32_e32 v50, 0xfeffffff
	v_mov_b32_e32 v100, 0
	;; [unrolled: 1-line block ×4, first 2 shown]
	s_branch .LBB19_37
.LBB19_36:
	buffer_store_dword v21, off, s[0:3], 0
	buffer_store_dword v20, off, s[0:3], 0 offset:4
	buffer_store_dword v18, off, s[0:3], 0 offset:8
	;; [unrolled: 1-line block ×3, first 2 shown]
.LBB19_37:
	s_cmp_eq_u64 s[44:45], 0
	s_cselect_b64 s[8:9], -1, 0
	s_cmp_lg_u32 s7, 0
	s_cselect_b64 s[10:11], -1, 0
	s_or_b64 s[8:9], s[10:11], s[8:9]
	s_nor_b64 s[8:9], s[8:9], s[20:21]
	s_and_saveexec_b64 s[12:13], s[8:9]
	s_cbranch_execz .LBB19_39
; %bb.38:
	v_mov_b32_e32 v2, 0
	v_lshl_add_u32 v2, v1, 3, v2
	buffer_load_dword v3, v2, s[0:3], 0 offen
	buffer_load_dword v4, v2, s[0:3], 0 offen offset:4
	s_ashr_i32 s25, s24, 31
	s_lshl_b64 s[8:9], s[24:25], 2
	s_add_u32 s8, s44, s8
	s_addc_u32 s9, s45, s9
	s_load_dword s8, s[8:9], 0x0
	v_cmp_eq_u32_e32 vcc, 1, v1
	v_cndmask_b32_e32 v5, v50, v51, vcc
	v_max_f32_e32 v7, v5, v5
	s_mov_b32 s6, 0x3fb8aa3b
	s_waitcnt lgkmcnt(0)
	v_max_f32_e64 v9, s8, s8
	v_max_f32_e32 v7, v9, v7
	v_sub_f32_e32 v5, v5, v7
	v_sub_f32_e32 v9, s8, v7
	v_mul_f32_e32 v10, 0x3fb8aa3b, v5
	v_mul_f32_e32 v11, 0x3fb8aa3b, v9
	v_fma_f32 v12, v5, s6, -v10
	v_rndne_f32_e32 v13, v10
	v_fma_f32 v14, v9, s6, -v11
	v_rndne_f32_e32 v15, v11
	v_fmac_f32_e32 v12, 0x32a5705f, v5
	v_sub_f32_e32 v10, v10, v13
	v_fmac_f32_e32 v14, 0x32a5705f, v9
	v_sub_f32_e32 v11, v11, v15
	v_add_f32_e32 v10, v10, v12
	v_cvt_i32_f32_e32 v13, v13
	v_add_f32_e32 v11, v11, v14
	v_exp_f32_e32 v10, v10
	v_cvt_i32_f32_e32 v15, v15
	v_exp_f32_e32 v11, v11
	s_mov_b32 s14, 0xc2ce8ed0
	v_cmp_eq_u32_e64 s[8:9], 0, v1
	v_cndmask_b32_e32 v51, v51, v7, vcc
	v_cndmask_b32_e64 v50, v50, v7, s[8:9]
	v_ldexp_f32 v7, v10, v13
	v_cmp_ngt_f32_e64 s[10:11], s14, v5
	s_mov_b32 s15, 0x42b17218
	v_ldexp_f32 v10, v11, v15
	v_cndmask_b32_e64 v7, 0, v7, s[10:11]
	v_cmp_ngt_f32_e64 s[10:11], s14, v9
	v_mov_b32_e32 v6, 0x7f800000
	v_cndmask_b32_e64 v10, 0, v10, s[10:11]
	v_cmp_nlt_f32_e64 s[10:11], s15, v5
	v_cndmask_b32_e64 v5, v6, v7, s[10:11]
	v_cvt_f16_f32_e32 v7, v5
	v_cmp_nlt_f32_e64 s[10:11], s15, v9
	v_cndmask_b32_e64 v6, v6, v10, s[10:11]
	v_cmp_eq_u32_e64 s[10:11], 0, v0
	v_cndmask_b32_e32 v8, v100, v115, vcc
	v_cndmask_b32_e64 v6, 0, v6, s[10:11]
	v_fmac_f32_e32 v6, v8, v5
	v_mul_u32_u24_e32 v5, 0x10001, v7
	v_cndmask_b32_e32 v115, v115, v6, vcc
	v_cndmask_b32_e64 v100, v100, v6, s[8:9]
	s_waitcnt vmcnt(1)
	v_pk_mul_f16 v3, v3, v5
	s_waitcnt vmcnt(0)
	v_pk_mul_f16 v4, v4, v5
	buffer_store_dword v3, v2, s[0:3], 0 offen
	buffer_store_dword v4, v2, s[0:3], 0 offen offset:4
.LBB19_39:
	s_or_b64 exec, exec, s[12:13]
	v_cmp_eq_u32_e32 vcc, 0, v1
	v_add_u32_e32 v4, 0x500, v54
	v_or_b32_e32 v10, 0x400, v54
	s_and_saveexec_b64 s[8:9], vcc
	s_cbranch_execz .LBB19_41
; %bb.40:
	v_mov_b32_e32 v2, 0xfeffffff
	v_mov_b32_e32 v3, 0
	ds_write2_b32 v10, v2, v2 offset1:32
	ds_write2_b32 v4, v3, v3 offset1:32
.LBB19_41:
	s_or_b64 exec, exec, s[8:9]
	v_cmp_eq_u32_e64 s[8:9], 0, v0
	s_waitcnt vmcnt(0) lgkmcnt(0)
	s_barrier
	s_and_saveexec_b64 s[10:11], s[8:9]
; %bb.42:
	v_lshlrev_b32_e32 v2, 2, v1
	v_add_u32_e32 v2, 0x400, v2
	ds_write2_b32 v2, v50, v51 offset1:32
; %bb.43:
	s_or_b64 exec, exec, s[10:11]
	s_cmp_lt_i32 s33, s22
	s_waitcnt lgkmcnt(0)
	s_barrier
	s_cbranch_scc1 .LBB19_45
; %bb.44:
	s_load_dword s6, s[4:5], 0xd4
	s_mul_i32 s54, s54, s22
	s_cbranch_execz .LBB19_46
	s_branch .LBB19_53
.LBB19_45:
                                        ; implicit-def: $sgpr6
	s_mul_i32 s54, s54, s22
.LBB19_46:
	v_mbcnt_hi_u32_b32 v2, -1, v57
	v_and_b32_e32 v3, 0x60, v2
	ds_read_b32 v7, v10
	v_add_u32_e32 v3, 32, v3
	v_xor_b32_e32 v5, 16, v2
	buffer_load_dword v13, off, s[0:3], 0
	buffer_load_dword v14, off, s[0:3], 0 offset:4
	v_cmp_lt_i32_e32 vcc, v5, v3
	v_cndmask_b32_e32 v5, v2, v5, vcc
	v_lshlrev_b32_e32 v5, 2, v5
	s_waitcnt lgkmcnt(0)
	ds_bpermute_b32 v8, v5, v7
	v_xor_b32_e32 v6, 8, v2
	v_cmp_lt_i32_e32 vcc, v6, v3
	v_cndmask_b32_e32 v6, v2, v6, vcc
	v_max_f32_e32 v7, v7, v7
	s_waitcnt lgkmcnt(0)
	v_max_f32_e32 v8, v8, v8
	v_lshlrev_b32_e32 v6, 2, v6
	v_max_f32_e32 v8, v7, v8
	ds_bpermute_b32 v9, v6, v8
	v_xor_b32_e32 v7, 4, v2
	v_cmp_lt_i32_e32 vcc, v7, v3
	v_cndmask_b32_e32 v7, v2, v7, vcc
	v_lshlrev_b32_e32 v7, 2, v7
	s_waitcnt lgkmcnt(0)
	v_max_f32_e32 v9, v9, v9
	v_max_f32_e32 v9, v8, v9
	ds_bpermute_b32 v11, v7, v9
	v_xor_b32_e32 v8, 2, v2
	v_cmp_lt_i32_e32 vcc, v8, v3
	v_cndmask_b32_e32 v8, v2, v8, vcc
	v_lshlrev_b32_e32 v8, 2, v8
	s_waitcnt lgkmcnt(0)
	v_max_f32_e32 v11, v11, v11
	;; [unrolled: 8-line block ×3, first 2 shown]
	v_max_f32_e32 v2, v11, v2
	ds_bpermute_b32 v3, v9, v2
	s_mov_b32 s6, 0x3fb8aa3b
	v_lshlrev_b32_e32 v16, 3, v0
	s_waitcnt lgkmcnt(0)
	v_max_f32_e32 v3, v3, v3
	v_max_f32_e32 v2, v2, v3
	v_sub_f32_e32 v3, v50, v2
	v_mul_f32_e32 v11, 0x3fb8aa3b, v3
	v_fma_f32 v12, v3, s6, -v11
	v_rndne_f32_e32 v15, v11
	v_fmac_f32_e32 v12, 0x32a5705f, v3
	v_sub_f32_e32 v11, v11, v15
	v_add_f32_e32 v11, v11, v12
	v_exp_f32_e32 v11, v11
	v_cvt_i32_f32_e32 v12, v15
	s_mov_b32 s6, 0xc2ce8ed0
	v_cmp_ngt_f32_e32 vcc, s6, v3
	s_mov_b32 s6, 0x42b17218
	v_ldexp_f32 v11, v11, v12
	v_cndmask_b32_e32 v11, 0, v11, vcc
	v_mov_b32_e32 v12, 0x7f800000
	v_cmp_nlt_f32_e32 vcc, s6, v3
	v_cndmask_b32_e32 v3, v12, v11, vcc
	v_mul_f32_e32 v11, v100, v3
	ds_bpermute_b32 v11, v5, v11
	v_mov_b32_e32 v15, 0x500
	v_lshl_add_u32 v1, v1, 2, v15
	s_load_dword s6, s[4:5], 0xd4
	s_waitcnt lgkmcnt(0)
	v_fmac_f32_e32 v11, v100, v3
	ds_bpermute_b32 v12, v6, v11
	v_cvt_f16_f32_e32 v3, v3
	s_waitcnt lgkmcnt(0)
	v_add_f32_e32 v11, v11, v12
	ds_bpermute_b32 v12, v7, v11
	v_mul_u32_u24_e32 v15, 0x10001, v3
	s_waitcnt lgkmcnt(0)
	v_add_f32_e32 v12, v11, v12
	ds_bpermute_b32 v17, v8, v12
	v_add_u32_e32 v11, v52, v16
	s_waitcnt vmcnt(1)
	v_pk_mul_f16 v13, v13, v15
	s_waitcnt vmcnt(0)
	v_pk_mul_f16 v14, v14, v15
	s_waitcnt lgkmcnt(0)
	v_add_f32_e32 v3, v12, v17
	ds_bpermute_b32 v12, v9, v3
	buffer_store_dword v13, off, s[0:3], 0
	buffer_store_dword v14, off, s[0:3], 0 offset:4
	ds_write_b64 v11, v[13:14]
	s_and_saveexec_b64 s[4:5], s[8:9]
	s_cbranch_execz .LBB19_48
; %bb.47:
	s_waitcnt lgkmcnt(1)
	v_add_f32_e32 v3, v3, v12
	ds_write_b32 v1, v3
.LBB19_48:
	s_or_b64 exec, exec, s[4:5]
	s_waitcnt vmcnt(0) lgkmcnt(0)
	s_barrier
	ds_read_b32 v3, v4
	ds_read_u16 v12, v55
	ds_read_u16 v13, v55 offset:256
	ds_read_u16 v14, v55 offset:512
	;; [unrolled: 1-line block ×3, first 2 shown]
	s_waitcnt lgkmcnt(4)
	ds_bpermute_b32 v16, v5, v3
	s_waitcnt lgkmcnt(4)
	v_cvt_f32_f16_e32 v12, v12
	s_waitcnt lgkmcnt(3)
	v_cvt_f32_f16_e32 v13, v13
	;; [unrolled: 2-line block ×4, first 2 shown]
	s_waitcnt lgkmcnt(0)
	v_add_f32_e32 v3, v3, v16
	ds_bpermute_b32 v16, v6, v3
	v_add_f32_e32 v12, 0, v12
	v_add_f32_e32 v12, v12, v13
	;; [unrolled: 1-line block ×4, first 2 shown]
	s_waitcnt lgkmcnt(0)
	v_add_f32_e32 v3, v3, v16
	ds_bpermute_b32 v16, v7, v3
	s_cmp_eq_u32 s6, 1
	s_waitcnt lgkmcnt(0)
	v_add_f32_e32 v3, v3, v16
	ds_bpermute_b32 v16, v8, v3
	s_waitcnt lgkmcnt(0)
	v_add_f32_e32 v3, v3, v16
	ds_bpermute_b32 v16, v9, v3
	s_waitcnt lgkmcnt(0)
	v_add_f32_e32 v100, v3, v16
	v_div_scale_f32 v3, s[4:5], v100, v100, v12
	v_div_scale_f32 v13, vcc, v12, v100, v12
	s_cselect_b64 s[4:5], -1, 0
	s_add_i32 s10, s33, s54
	s_mul_i32 s12, s10, s23
	s_add_i32 s12, s12, s24
	s_mul_i32 s10, s6, s12
	s_add_i32 s10, s10, s7
	s_or_b32 s11, s33, 1
	s_cmp_ge_i32 s11, s22
	v_rcp_f32_e32 v14, v3
	v_fma_f32 v15, -v3, v14, 1.0
	v_fmac_f32_e32 v14, v15, v14
	v_mul_f32_e32 v15, v13, v14
	v_fma_f32 v16, -v3, v15, v13
	v_fmac_f32_e32 v15, v16, v14
	v_fma_f32 v3, -v3, v15, v13
	v_div_fmas_f32 v14, v3, v14, v15
	v_mov_b32_e32 v13, 0
	v_mov_b32_e32 v15, s49
	;; [unrolled: 1-line block ×3, first 2 shown]
	v_div_fixup_f32 v14, v14, v100, v12
	v_cndmask_b32_e64 v14, v12, v14, s[4:5]
	v_lshl_or_b32 v12, s10, 7, v53
	v_lshlrev_b64 v[12:13], 2, v[12:13]
	v_add_co_u32_e32 v12, vcc, s48, v12
	v_addc_co_u32_e32 v13, vcc, v15, v13, vcc
	global_store_dword v[12:13], v14, off
	s_waitcnt vmcnt(0)
	s_barrier
	s_cbranch_scc1 .LBB19_52
; %bb.49:
	ds_read_b32 v3, v10 offset:128
	buffer_load_dword v13, off, s[0:3], 0 offset:8
	buffer_load_dword v14, off, s[0:3], 0 offset:12
	s_mov_b32 s10, 0x3fb8aa3b
	s_mov_b32 s11, 0x42b17218
	s_waitcnt lgkmcnt(0)
	ds_bpermute_b32 v10, v5, v3
	v_max_f32_e32 v3, v3, v3
	s_waitcnt lgkmcnt(0)
	v_max_f32_e32 v10, v10, v10
	v_max_f32_e32 v3, v3, v10
	ds_bpermute_b32 v10, v6, v3
	s_waitcnt lgkmcnt(0)
	v_max_f32_e32 v10, v10, v10
	v_max_f32_e32 v3, v3, v10
	ds_bpermute_b32 v10, v7, v3
	;; [unrolled: 4-line block ×4, first 2 shown]
	s_waitcnt lgkmcnt(0)
	v_max_f32_e32 v10, v10, v10
	v_max_f32_e32 v3, v3, v10
	v_sub_f32_e32 v10, v51, v3
	v_mul_f32_e32 v12, 0x3fb8aa3b, v10
	v_fma_f32 v15, v10, s10, -v12
	v_rndne_f32_e32 v16, v12
	v_fmac_f32_e32 v15, 0x32a5705f, v10
	v_sub_f32_e32 v12, v12, v16
	v_add_f32_e32 v12, v12, v15
	v_cvt_i32_f32_e32 v16, v16
	v_exp_f32_e32 v12, v12
	s_mov_b32 s10, 0xc2ce8ed0
	v_cmp_ngt_f32_e32 vcc, s10, v10
	v_mov_b32_e32 v15, 0x7f800000
	v_ldexp_f32 v12, v12, v16
	v_cndmask_b32_e32 v12, 0, v12, vcc
	v_cmp_nlt_f32_e32 vcc, s11, v10
	v_cndmask_b32_e32 v10, v15, v12, vcc
	v_mul_f32_e32 v12, v115, v10
	ds_bpermute_b32 v12, v5, v12
	s_waitcnt lgkmcnt(0)
	v_fmac_f32_e32 v12, v115, v10
	ds_bpermute_b32 v15, v6, v12
	v_cvt_f16_f32_e32 v10, v10
	s_waitcnt lgkmcnt(0)
	v_add_f32_e32 v12, v12, v15
	ds_bpermute_b32 v15, v7, v12
	v_mul_u32_u24_e32 v16, 0x10001, v10
	s_waitcnt lgkmcnt(0)
	v_add_f32_e32 v12, v12, v15
	ds_bpermute_b32 v15, v8, v12
	s_waitcnt lgkmcnt(0)
	v_add_f32_e32 v10, v12, v15
	ds_bpermute_b32 v12, v9, v10
	s_waitcnt vmcnt(1)
	v_pk_mul_f16 v13, v13, v16
	s_waitcnt vmcnt(0)
	v_pk_mul_f16 v14, v14, v16
	buffer_store_dword v13, off, s[0:3], 0 offset:8
	buffer_store_dword v14, off, s[0:3], 0 offset:12
	ds_write_b64 v11, v[13:14]
	s_and_saveexec_b64 s[10:11], s[8:9]
	s_cbranch_execz .LBB19_51
; %bb.50:
	s_waitcnt lgkmcnt(1)
	v_add_f32_e32 v10, v10, v12
	ds_write_b32 v1, v10 offset:128
.LBB19_51:
	s_or_b64 exec, exec, s[10:11]
	s_waitcnt vmcnt(0) lgkmcnt(0)
	s_barrier
	ds_read_b32 v1, v4 offset:128
	ds_read_u16 v4, v55
	ds_read_u16 v10, v55 offset:256
	ds_read_u16 v11, v55 offset:512
	;; [unrolled: 1-line block ×3, first 2 shown]
	s_waitcnt lgkmcnt(4)
	ds_bpermute_b32 v5, v5, v1
	s_waitcnt lgkmcnt(4)
	v_cvt_f32_f16_e32 v4, v4
	s_add_i32 s12, s12, s23
	s_waitcnt lgkmcnt(0)
	v_add_f32_e32 v1, v1, v5
	ds_bpermute_b32 v5, v6, v1
	v_cvt_f32_f16_e32 v6, v10
	v_add_f32_e32 v4, 0, v4
	s_waitcnt lgkmcnt(0)
	v_add_f32_e32 v1, v1, v5
	ds_bpermute_b32 v5, v7, v1
	v_cvt_f32_f16_e32 v7, v11
	v_add_f32_e32 v4, v4, v6
	;; [unrolled: 5-line block ×3, first 2 shown]
	s_waitcnt lgkmcnt(0)
	v_add_f32_e32 v1, v1, v5
	ds_bpermute_b32 v5, v9, v1
	v_add_f32_e32 v6, v4, v8
	s_waitcnt lgkmcnt(0)
	v_add_f32_e32 v115, v1, v5
	v_div_scale_f32 v1, s[8:9], v115, v115, v6
	v_div_scale_f32 v4, vcc, v6, v115, v6
	s_mul_i32 s8, s6, s12
	s_add_i32 s8, s8, s7
	v_rcp_f32_e32 v5, v1
	v_fma_f32 v7, -v1, v5, 1.0
	v_fmac_f32_e32 v5, v7, v5
	v_mul_f32_e32 v7, v4, v5
	v_fma_f32 v8, -v1, v7, v4
	v_fmac_f32_e32 v7, v8, v5
	v_fma_f32 v1, -v1, v7, v4
	v_div_fmas_f32 v1, v1, v5, v7
	v_lshl_or_b32 v4, s8, 7, v53
	v_mov_b32_e32 v5, 0
	v_lshlrev_b64 v[4:5], 2, v[4:5]
	v_mov_b32_e32 v7, s49
	v_add_co_u32_e32 v4, vcc, s48, v4
	v_addc_co_u32_e32 v5, vcc, v7, v5, vcc
	v_div_fixup_f32 v1, v1, v115, v6
	v_cndmask_b32_e64 v1, v6, v1, s[4:5]
	global_store_dword v[4:5], v1, off
.LBB19_52:
	v_mov_b32_e32 v51, v3
	v_mov_b32_e32 v50, v2
.LBB19_53:
	s_waitcnt lgkmcnt(0)
	s_cmp_lg_u32 s6, 1
	s_cselect_b64 s[4:5], -1, 0
	v_cmp_gt_u32_e32 vcc, 2, v53
	v_or_b32_e32 v0, s33, v0
	s_and_b64 s[4:5], s[4:5], vcc
	v_cmp_gt_i32_e32 vcc, s22, v0
	s_and_b64 s[4:5], s[4:5], vcc
	s_and_saveexec_b64 s[8:9], s[4:5]
	s_cbranch_execz .LBB19_55
; %bb.54:
	v_add_u32_e32 v0, s54, v0
	v_mul_lo_u32 v1, v0, s23
	v_mov_b32_e32 v3, 0
	v_cmp_eq_u32_e32 vcc, 1, v53
	v_cndmask_b32_e32 v0, v50, v51, vcc
	v_add_u32_e32 v1, s24, v1
	v_mul_lo_u32 v2, s6, v1
	v_mov_b32_e32 v4, s51
	v_cndmask_b32_e32 v1, v100, v115, vcc
	v_add_u32_e32 v2, s7, v2
	v_lshlrev_b64 v[2:3], 3, v[2:3]
	v_add_co_u32_e32 v2, vcc, s50, v2
	v_addc_co_u32_e32 v3, vcc, v4, v3, vcc
	global_store_dwordx2 v[2:3], v[0:1], off
.LBB19_55:
	s_endpgm
	.section	.rodata,"a",@progbits
	.p2align	6, 0x0
	.amdhsa_kernel _ZL18flash_attn_ext_vecILi128ELi2EL9ggml_type2ELS0_8ELb0EEvPKcS2_S2_S2_S2_PKiPfP15HIP_vector_typeIfLj2EEffffjfiS6_IjLj3EEiiiiiiiiiiiliiliiiiil
		.amdhsa_group_segment_fixed_size 1536
		.amdhsa_private_segment_fixed_size 32
		.amdhsa_kernarg_size 464
		.amdhsa_user_sgpr_count 6
		.amdhsa_user_sgpr_private_segment_buffer 1
		.amdhsa_user_sgpr_dispatch_ptr 0
		.amdhsa_user_sgpr_queue_ptr 0
		.amdhsa_user_sgpr_kernarg_segment_ptr 1
		.amdhsa_user_sgpr_dispatch_id 0
		.amdhsa_user_sgpr_flat_scratch_init 0
		.amdhsa_user_sgpr_private_segment_size 0
		.amdhsa_uses_dynamic_stack 0
		.amdhsa_system_sgpr_private_segment_wavefront_offset 1
		.amdhsa_system_sgpr_workgroup_id_x 1
		.amdhsa_system_sgpr_workgroup_id_y 1
		.amdhsa_system_sgpr_workgroup_id_z 1
		.amdhsa_system_sgpr_workgroup_info 0
		.amdhsa_system_vgpr_workitem_id 1
		.amdhsa_next_free_vgpr 247
		.amdhsa_next_free_sgpr 66
		.amdhsa_reserve_vcc 1
		.amdhsa_reserve_flat_scratch 0
		.amdhsa_float_round_mode_32 0
		.amdhsa_float_round_mode_16_64 0
		.amdhsa_float_denorm_mode_32 3
		.amdhsa_float_denorm_mode_16_64 3
		.amdhsa_dx10_clamp 1
		.amdhsa_ieee_mode 1
		.amdhsa_fp16_overflow 0
		.amdhsa_exception_fp_ieee_invalid_op 0
		.amdhsa_exception_fp_denorm_src 0
		.amdhsa_exception_fp_ieee_div_zero 0
		.amdhsa_exception_fp_ieee_overflow 0
		.amdhsa_exception_fp_ieee_underflow 0
		.amdhsa_exception_fp_ieee_inexact 0
		.amdhsa_exception_int_div_zero 0
	.end_amdhsa_kernel
	.section	.text._ZL18flash_attn_ext_vecILi128ELi2EL9ggml_type2ELS0_8ELb0EEvPKcS2_S2_S2_S2_PKiPfP15HIP_vector_typeIfLj2EEffffjfiS6_IjLj3EEiiiiiiiiiiiliiliiiiil,"axG",@progbits,_ZL18flash_attn_ext_vecILi128ELi2EL9ggml_type2ELS0_8ELb0EEvPKcS2_S2_S2_S2_PKiPfP15HIP_vector_typeIfLj2EEffffjfiS6_IjLj3EEiiiiiiiiiiiliiliiiiil,comdat
.Lfunc_end19:
	.size	_ZL18flash_attn_ext_vecILi128ELi2EL9ggml_type2ELS0_8ELb0EEvPKcS2_S2_S2_S2_PKiPfP15HIP_vector_typeIfLj2EEffffjfiS6_IjLj3EEiiiiiiiiiiiliiliiiiil, .Lfunc_end19-_ZL18flash_attn_ext_vecILi128ELi2EL9ggml_type2ELS0_8ELb0EEvPKcS2_S2_S2_S2_PKiPfP15HIP_vector_typeIfLj2EEffffjfiS6_IjLj3EEiiiiiiiiiiiliiliiiiil
                                        ; -- End function
	.set _ZL18flash_attn_ext_vecILi128ELi2EL9ggml_type2ELS0_8ELb0EEvPKcS2_S2_S2_S2_PKiPfP15HIP_vector_typeIfLj2EEffffjfiS6_IjLj3EEiiiiiiiiiiiliiliiiiil.num_vgpr, 247
	.set _ZL18flash_attn_ext_vecILi128ELi2EL9ggml_type2ELS0_8ELb0EEvPKcS2_S2_S2_S2_PKiPfP15HIP_vector_typeIfLj2EEffffjfiS6_IjLj3EEiiiiiiiiiiiliiliiiiil.num_agpr, 0
	.set _ZL18flash_attn_ext_vecILi128ELi2EL9ggml_type2ELS0_8ELb0EEvPKcS2_S2_S2_S2_PKiPfP15HIP_vector_typeIfLj2EEffffjfiS6_IjLj3EEiiiiiiiiiiiliiliiiiil.numbered_sgpr, 66
	.set _ZL18flash_attn_ext_vecILi128ELi2EL9ggml_type2ELS0_8ELb0EEvPKcS2_S2_S2_S2_PKiPfP15HIP_vector_typeIfLj2EEffffjfiS6_IjLj3EEiiiiiiiiiiiliiliiiiil.num_named_barrier, 0
	.set _ZL18flash_attn_ext_vecILi128ELi2EL9ggml_type2ELS0_8ELb0EEvPKcS2_S2_S2_S2_PKiPfP15HIP_vector_typeIfLj2EEffffjfiS6_IjLj3EEiiiiiiiiiiiliiliiiiil.private_seg_size, 32
	.set _ZL18flash_attn_ext_vecILi128ELi2EL9ggml_type2ELS0_8ELb0EEvPKcS2_S2_S2_S2_PKiPfP15HIP_vector_typeIfLj2EEffffjfiS6_IjLj3EEiiiiiiiiiiiliiliiiiil.uses_vcc, 1
	.set _ZL18flash_attn_ext_vecILi128ELi2EL9ggml_type2ELS0_8ELb0EEvPKcS2_S2_S2_S2_PKiPfP15HIP_vector_typeIfLj2EEffffjfiS6_IjLj3EEiiiiiiiiiiiliiliiiiil.uses_flat_scratch, 0
	.set _ZL18flash_attn_ext_vecILi128ELi2EL9ggml_type2ELS0_8ELb0EEvPKcS2_S2_S2_S2_PKiPfP15HIP_vector_typeIfLj2EEffffjfiS6_IjLj3EEiiiiiiiiiiiliiliiiiil.has_dyn_sized_stack, 0
	.set _ZL18flash_attn_ext_vecILi128ELi2EL9ggml_type2ELS0_8ELb0EEvPKcS2_S2_S2_S2_PKiPfP15HIP_vector_typeIfLj2EEffffjfiS6_IjLj3EEiiiiiiiiiiiliiliiiiil.has_recursion, 0
	.set _ZL18flash_attn_ext_vecILi128ELi2EL9ggml_type2ELS0_8ELb0EEvPKcS2_S2_S2_S2_PKiPfP15HIP_vector_typeIfLj2EEffffjfiS6_IjLj3EEiiiiiiiiiiiliiliiiiil.has_indirect_call, 0
	.section	.AMDGPU.csdata,"",@progbits
; Kernel info:
; codeLenInByte = 17916
; TotalNumSgprs: 70
; NumVgprs: 247
; ScratchSize: 32
; MemoryBound: 0
; FloatMode: 240
; IeeeMode: 1
; LDSByteSize: 1536 bytes/workgroup (compile time only)
; SGPRBlocks: 8
; VGPRBlocks: 61
; NumSGPRsForWavesPerEU: 70
; NumVGPRsForWavesPerEU: 247
; Occupancy: 1
; WaveLimiterHint : 0
; COMPUTE_PGM_RSRC2:SCRATCH_EN: 1
; COMPUTE_PGM_RSRC2:USER_SGPR: 6
; COMPUTE_PGM_RSRC2:TRAP_HANDLER: 0
; COMPUTE_PGM_RSRC2:TGID_X_EN: 1
; COMPUTE_PGM_RSRC2:TGID_Y_EN: 1
; COMPUTE_PGM_RSRC2:TGID_Z_EN: 1
; COMPUTE_PGM_RSRC2:TIDIG_COMP_CNT: 1
	.section	.text._ZL33flash_attn_stream_k_fixup_uniformILi128ELi2ELi1EEvPfPK15HIP_vector_typeIfLj2EEiiiiiiS1_IjLj3EES5_S5_,"axG",@progbits,_ZL33flash_attn_stream_k_fixup_uniformILi128ELi2ELi1EEvPfPK15HIP_vector_typeIfLj2EEiiiiiiS1_IjLj3EES5_S5_,comdat
	.globl	_ZL33flash_attn_stream_k_fixup_uniformILi128ELi2ELi1EEvPfPK15HIP_vector_typeIfLj2EEiiiiiiS1_IjLj3EES5_S5_ ; -- Begin function _ZL33flash_attn_stream_k_fixup_uniformILi128ELi2ELi1EEvPfPK15HIP_vector_typeIfLj2EEiiiiiiS1_IjLj3EES5_S5_
	.p2align	8
	.type	_ZL33flash_attn_stream_k_fixup_uniformILi128ELi2ELi1EEvPfPK15HIP_vector_typeIfLj2EEiiiiiiS1_IjLj3EES5_S5_,@function
_ZL33flash_attn_stream_k_fixup_uniformILi128ELi2ELi1EEvPfPK15HIP_vector_typeIfLj2EEiiiiiiS1_IjLj3EES5_S5_: ; @_ZL33flash_attn_stream_k_fixup_uniformILi128ELi2ELi1EEvPfPK15HIP_vector_typeIfLj2EEiiiiiiS1_IjLj3EES5_S5_
; %bb.0:
	s_load_dwordx8 s[12:19], s[4:5], 0x1c
	s_load_dwordx2 s[10:11], s[4:5], 0x10
	s_load_dwordx4 s[0:3], s[4:5], 0x3c
	s_waitcnt lgkmcnt(0)
	s_mul_hi_u32 s9, s15, s6
	s_add_i32 s9, s6, s9
	s_lshr_b32 s9, s9, s16
	s_mul_i32 s15, s9, s17
	s_sub_i32 s15, s6, s15
	s_mul_hi_u32 s16, s15, s18
	s_add_i32 s16, s15, s16
	s_lshr_b32 s16, s16, s19
	s_mul_i32 s0, s16, s0
	s_sub_i32 s0, s15, s0
	;; [unrolled: 5-line block ×3, first 2 shown]
	s_lshl_b32 s0, s17, 1
	s_add_i32 s0, s0, s7
	s_cmp_lt_i32 s0, s10
	s_cselect_b64 s[0:1], -1, 0
	s_add_i32 s2, s15, s8
	s_cmp_lt_i32 s2, s13
	s_cselect_b64 s[2:3], -1, 0
	s_and_b64 s[0:1], s[0:1], s[2:3]
	s_andn2_b64 vcc, exec, s[0:1]
	s_cbranch_vccnz .LBB20_6
; %bb.1:
	s_load_dwordx4 s[0:3], s[4:5], 0x0
	s_mul_i32 s4, s9, s10
	s_add_i32 s4, s4, s7
	s_mul_i32 s4, s4, s11
	s_mul_i32 s16, s16, s13
	s_add_i32 s4, s4, s8
	s_add_i32 s4, s4, s16
	s_mul_i32 s5, s11, s17
	s_add_i32 s4, s4, s15
	s_lshl_b32 s5, s5, 8
	s_lshl_b32 s4, s4, 7
	s_add_i32 s5, s5, s4
	v_or_b32_e32 v1, s5, v0
	v_ashrrev_i32_e32 v2, 31, v1
	v_lshlrev_b64 v[1:2], 2, v[1:2]
	s_waitcnt lgkmcnt(0)
	v_mov_b32_e32 v3, s1
	v_add_co_u32_e32 v1, vcc, s0, v1
	v_addc_co_u32_e32 v2, vcc, v3, v2, vcc
	global_load_dword v8, v[1:2], off
	s_add_i32 s4, s7, s8
	s_mul_i32 s7, s14, s6
	s_add_i32 s5, s7, s14
	s_lshl_b32 s0, s5, 1
	s_add_i32 s0, s4, s0
	s_add_i32 s0, s0, -2
	s_ashr_i32 s1, s0, 31
	s_lshl_b64 s[0:1], s[0:1], 3
	s_add_u32 s0, s2, s0
	s_addc_u32 s1, s3, s1
	s_load_dword s10, s[0:1], 0x4
	s_add_i32 s8, s5, -2
	s_cmp_lt_i32 s8, s7
	s_cbranch_scc1 .LBB20_4
; %bb.2:
	s_lshl_b32 s8, s12, 3
	s_ashr_i32 s9, s8, 31
	s_lshl_b64 s[8:9], s[8:9], 2
	s_add_u32 s8, s2, s8
	s_addc_u32 s11, s3, s9
	s_add_i32 s6, s6, 1
	s_add_i32 s9, s5, -1
	s_mul_i32 s5, s14, s6
	s_load_dword s0, s[0:1], 0x0
	s_lshl_b32 s1, s4, 7
	s_lshl_b32 s6, s5, 8
	s_add_i32 s1, s1, s6
	v_or_b32_e32 v0, s1, v0
	s_lshl_b32 s1, s5, 1
	s_add_i32 s1, s4, s1
	s_lshl_b32 s4, s12, 1
	s_add_i32 s1, s1, s4
	v_add_u32_e32 v3, 0xfffffe00, v0
	s_add_i32 s4, s1, -4
	s_waitcnt lgkmcnt(0)
	v_mov_b32_e32 v7, s10
	v_mov_b32_e32 v6, s0
	;; [unrolled: 1-line block ×3, first 2 shown]
	s_mov_b32 s6, 0x3fb8aa3b
	s_mov_b32 s10, 0xc2ce8ed0
	;; [unrolled: 1-line block ×3, first 2 shown]
	v_mov_b32_e32 v5, 0x7f800000
	s_mov_b32 s12, 0xc1a00000
.LBB20_3:                               ; =>This Inner Loop Header: Depth=1
	v_ashrrev_i32_e32 v4, 31, v3
	v_lshlrev_b64 v[9:10], 2, v[3:4]
	s_ashr_i32 s5, s4, 31
	v_add_co_u32_e32 v9, vcc, s8, v9
	v_addc_co_u32_e32 v10, vcc, v0, v10, vcc
	global_load_dword v4, v[9:10], off
	s_lshl_b64 s[0:1], s[4:5], 3
	s_add_u32 s0, s2, s0
	s_addc_u32 s1, s3, s1
	s_load_dwordx2 s[14:15], s[0:1], 0x0
	s_waitcnt vmcnt(1)
	v_mov_b32_e32 v9, v8
	v_max_f32_e32 v8, v6, v6
	v_mov_b32_e32 v10, v7
	s_add_i32 s9, s9, -1
	s_waitcnt lgkmcnt(0)
	v_max_f32_e64 v7, s14, s14
	v_max_f32_e32 v7, v8, v7
	v_sub_f32_e32 v11, s14, v7
	v_sub_f32_e32 v8, v6, v7
	v_mul_f32_e32 v12, 0x3fb8aa3b, v11
	v_mov_b32_e32 v6, v7
	v_mul_f32_e32 v7, 0x3fb8aa3b, v8
	v_fma_f32 v15, v11, s6, -v12
	v_rndne_f32_e32 v16, v12
	v_fma_f32 v13, v8, s6, -v7
	v_rndne_f32_e32 v14, v7
	v_fmac_f32_e32 v15, 0x32a5705f, v11
	v_sub_f32_e32 v12, v12, v16
	v_fmac_f32_e32 v13, 0x32a5705f, v8
	v_sub_f32_e32 v7, v7, v14
	v_add_f32_e32 v12, v12, v15
	v_cvt_i32_f32_e32 v16, v16
	v_add_f32_e32 v7, v7, v13
	v_exp_f32_e32 v12, v12
	v_cvt_i32_f32_e32 v14, v14
	v_exp_f32_e32 v7, v7
	v_cmp_ngt_f32_e32 vcc, s10, v11
	v_ldexp_f32 v12, v12, v16
	v_cmp_ngt_f32_e64 s[0:1], s10, v8
	v_ldexp_f32 v7, v7, v14
	v_cndmask_b32_e32 v12, 0, v12, vcc
	v_cmp_nlt_f32_e32 vcc, s11, v11
	v_cndmask_b32_e64 v7, 0, v7, s[0:1]
	v_cmp_nlt_f32_e64 s[0:1], s11, v8
	v_cndmask_b32_e32 v12, v5, v12, vcc
	v_cmp_le_f32_e32 vcc, s12, v11
	v_cndmask_b32_e64 v7, v5, v7, s[0:1]
	v_cmp_le_f32_e64 s[0:1], s12, v8
	v_cndmask_b32_e32 v8, 0, v12, vcc
	s_add_i32 s4, s4, -2
	v_cndmask_b32_e64 v11, 0, v7, s[0:1]
	v_mul_f32_e32 v7, s15, v8
	v_add_u32_e32 v3, 0xffffff00, v3
	s_cmp_le_i32 s9, s7
	v_fmac_f32_e32 v7, v10, v11
	s_waitcnt vmcnt(0)
	v_mul_f32_e32 v8, v4, v8
	v_fmac_f32_e32 v8, v9, v11
	s_cbranch_scc0 .LBB20_3
	s_branch .LBB20_5
.LBB20_4:
	s_waitcnt lgkmcnt(0)
	v_mov_b32_e32 v7, s10
.LBB20_5:
	s_waitcnt vmcnt(0)
	v_div_scale_f32 v0, s[0:1], v7, v7, v8
	v_div_scale_f32 v3, vcc, v8, v7, v8
	v_rcp_f32_e32 v4, v0
	v_fma_f32 v5, -v0, v4, 1.0
	v_fmac_f32_e32 v4, v5, v4
	v_mul_f32_e32 v5, v3, v4
	v_fma_f32 v6, -v0, v5, v3
	v_fmac_f32_e32 v5, v6, v4
	v_fma_f32 v0, -v0, v5, v3
	v_div_fmas_f32 v0, v0, v4, v5
	v_div_fixup_f32 v0, v0, v7, v8
	global_store_dword v[1:2], v0, off
.LBB20_6:
	s_endpgm
	.section	.rodata,"a",@progbits
	.p2align	6, 0x0
	.amdhsa_kernel _ZL33flash_attn_stream_k_fixup_uniformILi128ELi2ELi1EEvPfPK15HIP_vector_typeIfLj2EEiiiiiiS1_IjLj3EES5_S5_
		.amdhsa_group_segment_fixed_size 0
		.amdhsa_private_segment_fixed_size 0
		.amdhsa_kernarg_size 76
		.amdhsa_user_sgpr_count 6
		.amdhsa_user_sgpr_private_segment_buffer 1
		.amdhsa_user_sgpr_dispatch_ptr 0
		.amdhsa_user_sgpr_queue_ptr 0
		.amdhsa_user_sgpr_kernarg_segment_ptr 1
		.amdhsa_user_sgpr_dispatch_id 0
		.amdhsa_user_sgpr_flat_scratch_init 0
		.amdhsa_user_sgpr_private_segment_size 0
		.amdhsa_uses_dynamic_stack 0
		.amdhsa_system_sgpr_private_segment_wavefront_offset 0
		.amdhsa_system_sgpr_workgroup_id_x 1
		.amdhsa_system_sgpr_workgroup_id_y 1
		.amdhsa_system_sgpr_workgroup_id_z 1
		.amdhsa_system_sgpr_workgroup_info 0
		.amdhsa_system_vgpr_workitem_id 0
		.amdhsa_next_free_vgpr 17
		.amdhsa_next_free_sgpr 20
		.amdhsa_reserve_vcc 1
		.amdhsa_reserve_flat_scratch 0
		.amdhsa_float_round_mode_32 0
		.amdhsa_float_round_mode_16_64 0
		.amdhsa_float_denorm_mode_32 3
		.amdhsa_float_denorm_mode_16_64 3
		.amdhsa_dx10_clamp 1
		.amdhsa_ieee_mode 1
		.amdhsa_fp16_overflow 0
		.amdhsa_exception_fp_ieee_invalid_op 0
		.amdhsa_exception_fp_denorm_src 0
		.amdhsa_exception_fp_ieee_div_zero 0
		.amdhsa_exception_fp_ieee_overflow 0
		.amdhsa_exception_fp_ieee_underflow 0
		.amdhsa_exception_fp_ieee_inexact 0
		.amdhsa_exception_int_div_zero 0
	.end_amdhsa_kernel
	.section	.text._ZL33flash_attn_stream_k_fixup_uniformILi128ELi2ELi1EEvPfPK15HIP_vector_typeIfLj2EEiiiiiiS1_IjLj3EES5_S5_,"axG",@progbits,_ZL33flash_attn_stream_k_fixup_uniformILi128ELi2ELi1EEvPfPK15HIP_vector_typeIfLj2EEiiiiiiS1_IjLj3EES5_S5_,comdat
.Lfunc_end20:
	.size	_ZL33flash_attn_stream_k_fixup_uniformILi128ELi2ELi1EEvPfPK15HIP_vector_typeIfLj2EEiiiiiiS1_IjLj3EES5_S5_, .Lfunc_end20-_ZL33flash_attn_stream_k_fixup_uniformILi128ELi2ELi1EEvPfPK15HIP_vector_typeIfLj2EEiiiiiiS1_IjLj3EES5_S5_
                                        ; -- End function
	.set _ZL33flash_attn_stream_k_fixup_uniformILi128ELi2ELi1EEvPfPK15HIP_vector_typeIfLj2EEiiiiiiS1_IjLj3EES5_S5_.num_vgpr, 17
	.set _ZL33flash_attn_stream_k_fixup_uniformILi128ELi2ELi1EEvPfPK15HIP_vector_typeIfLj2EEiiiiiiS1_IjLj3EES5_S5_.num_agpr, 0
	.set _ZL33flash_attn_stream_k_fixup_uniformILi128ELi2ELi1EEvPfPK15HIP_vector_typeIfLj2EEiiiiiiS1_IjLj3EES5_S5_.numbered_sgpr, 20
	.set _ZL33flash_attn_stream_k_fixup_uniformILi128ELi2ELi1EEvPfPK15HIP_vector_typeIfLj2EEiiiiiiS1_IjLj3EES5_S5_.num_named_barrier, 0
	.set _ZL33flash_attn_stream_k_fixup_uniformILi128ELi2ELi1EEvPfPK15HIP_vector_typeIfLj2EEiiiiiiS1_IjLj3EES5_S5_.private_seg_size, 0
	.set _ZL33flash_attn_stream_k_fixup_uniformILi128ELi2ELi1EEvPfPK15HIP_vector_typeIfLj2EEiiiiiiS1_IjLj3EES5_S5_.uses_vcc, 1
	.set _ZL33flash_attn_stream_k_fixup_uniformILi128ELi2ELi1EEvPfPK15HIP_vector_typeIfLj2EEiiiiiiS1_IjLj3EES5_S5_.uses_flat_scratch, 0
	.set _ZL33flash_attn_stream_k_fixup_uniformILi128ELi2ELi1EEvPfPK15HIP_vector_typeIfLj2EEiiiiiiS1_IjLj3EES5_S5_.has_dyn_sized_stack, 0
	.set _ZL33flash_attn_stream_k_fixup_uniformILi128ELi2ELi1EEvPfPK15HIP_vector_typeIfLj2EEiiiiiiS1_IjLj3EES5_S5_.has_recursion, 0
	.set _ZL33flash_attn_stream_k_fixup_uniformILi128ELi2ELi1EEvPfPK15HIP_vector_typeIfLj2EEiiiiiiS1_IjLj3EES5_S5_.has_indirect_call, 0
	.section	.AMDGPU.csdata,"",@progbits
; Kernel info:
; codeLenInByte = 836
; TotalNumSgprs: 24
; NumVgprs: 17
; ScratchSize: 0
; MemoryBound: 0
; FloatMode: 240
; IeeeMode: 1
; LDSByteSize: 0 bytes/workgroup (compile time only)
; SGPRBlocks: 2
; VGPRBlocks: 4
; NumSGPRsForWavesPerEU: 24
; NumVGPRsForWavesPerEU: 17
; Occupancy: 10
; WaveLimiterHint : 0
; COMPUTE_PGM_RSRC2:SCRATCH_EN: 0
; COMPUTE_PGM_RSRC2:USER_SGPR: 6
; COMPUTE_PGM_RSRC2:TRAP_HANDLER: 0
; COMPUTE_PGM_RSRC2:TGID_X_EN: 1
; COMPUTE_PGM_RSRC2:TGID_Y_EN: 1
; COMPUTE_PGM_RSRC2:TGID_Z_EN: 1
; COMPUTE_PGM_RSRC2:TIDIG_COMP_CNT: 0
	.section	.text._ZL33flash_attn_stream_k_fixup_generalILi128ELi2ELi1EEvPfPK15HIP_vector_typeIfLj2EEiiiiS1_IjLj3EES5_S5_S5_,"axG",@progbits,_ZL33flash_attn_stream_k_fixup_generalILi128ELi2ELi1EEvPfPK15HIP_vector_typeIfLj2EEiiiiS1_IjLj3EES5_S5_S5_,comdat
	.globl	_ZL33flash_attn_stream_k_fixup_generalILi128ELi2ELi1EEvPfPK15HIP_vector_typeIfLj2EEiiiiS1_IjLj3EES5_S5_S5_ ; -- Begin function _ZL33flash_attn_stream_k_fixup_generalILi128ELi2ELi1EEvPfPK15HIP_vector_typeIfLj2EEiiiiS1_IjLj3EES5_S5_S5_
	.p2align	8
	.type	_ZL33flash_attn_stream_k_fixup_generalILi128ELi2ELi1EEvPfPK15HIP_vector_typeIfLj2EEiiiiS1_IjLj3EES5_S5_S5_,@function
_ZL33flash_attn_stream_k_fixup_generalILi128ELi2ELi1EEvPfPK15HIP_vector_typeIfLj2EEiiiiS1_IjLj3EES5_S5_S5_: ; @_ZL33flash_attn_stream_k_fixup_generalILi128ELi2ELi1EEvPfPK15HIP_vector_typeIfLj2EEiiiiS1_IjLj3EES5_S5_S5_
; %bb.0:
	s_load_dwordx4 s[0:3], s[4:5], 0x10
	s_load_dword s22, s[4:5], 0x50
	s_mov_b32 s12, 0
	s_waitcnt lgkmcnt(0)
	s_mul_hi_i32 s13, s3, s6
	s_cmp_lg_u64 s[12:13], 0
	s_mul_i32 s9, s3, s6
	s_cbranch_scc0 .LBB21_20
; %bb.1:
	s_add_u32 s10, s22, 0
	s_addc_u32 s11, 0, 0
	s_xor_b64 s[10:11], s[10:11], 0
	v_cvt_f32_u32_e32 v1, s10
	v_cvt_f32_u32_e32 v2, s11
	s_sub_u32 s12, 0, s10
	s_subb_u32 s18, 0, s11
	v_madmk_f32 v1, v2, 0x4f800000, v1
	v_rcp_f32_e32 v1, v1
	v_mul_f32_e32 v1, 0x5f7ffffc, v1
	v_mul_f32_e32 v2, 0x2f800000, v1
	v_trunc_f32_e32 v2, v2
	v_madmk_f32 v1, v2, 0xcf800000, v1
	v_cvt_u32_f32_e32 v2, v2
	v_cvt_u32_f32_e32 v1, v1
	v_readfirstlane_b32 s19, v2
	v_readfirstlane_b32 s14, v1
	s_mul_i32 s15, s12, s19
	s_mul_hi_u32 s21, s12, s14
	s_mul_i32 s20, s18, s14
	s_add_i32 s15, s21, s15
	s_add_i32 s15, s15, s20
	s_mul_i32 s23, s12, s14
	s_mul_i32 s21, s14, s15
	s_mul_hi_u32 s24, s14, s23
	s_mul_hi_u32 s20, s14, s15
	s_add_u32 s21, s24, s21
	s_addc_u32 s20, 0, s20
	s_mul_hi_u32 s25, s19, s23
	s_mul_i32 s23, s19, s23
	s_add_u32 s21, s21, s23
	s_mul_hi_u32 s24, s19, s15
	s_addc_u32 s20, s20, s25
	s_addc_u32 s21, s24, 0
	s_mul_i32 s15, s19, s15
	s_add_u32 s15, s20, s15
	s_addc_u32 s20, 0, s21
	s_add_u32 s21, s14, s15
	s_cselect_b64 s[14:15], -1, 0
	s_cmp_lg_u64 s[14:15], 0
	s_addc_u32 s19, s19, s20
	s_mul_i32 s14, s12, s19
	s_mul_hi_u32 s15, s12, s21
	s_add_i32 s14, s15, s14
	s_mul_i32 s18, s18, s21
	s_add_i32 s14, s14, s18
	s_mul_i32 s12, s12, s21
	s_mul_hi_u32 s18, s19, s12
	s_mul_i32 s20, s19, s12
	s_mul_i32 s24, s21, s14
	s_mul_hi_u32 s12, s21, s12
	s_mul_hi_u32 s23, s21, s14
	s_add_u32 s12, s12, s24
	s_addc_u32 s23, 0, s23
	s_add_u32 s12, s12, s20
	s_mul_hi_u32 s15, s19, s14
	s_addc_u32 s12, s23, s18
	s_addc_u32 s15, s15, 0
	s_mul_i32 s14, s19, s14
	s_add_u32 s12, s12, s14
	s_addc_u32 s18, 0, s15
	s_add_u32 s20, s21, s12
	s_cselect_b64 s[14:15], -1, 0
	s_cmp_lg_u64 s[14:15], 0
	s_addc_u32 s18, s19, s18
	s_ashr_i32 s14, s13, 31
	s_add_u32 s12, s9, s14
	s_mov_b32 s15, s14
	s_addc_u32 s13, s13, s14
	s_xor_b64 s[12:13], s[12:13], s[14:15]
	s_mul_i32 s21, s12, s18
	s_mul_hi_u32 s23, s12, s20
	s_mul_hi_u32 s19, s12, s18
	s_add_u32 s21, s23, s21
	s_addc_u32 s19, 0, s19
	s_mul_hi_u32 s24, s13, s20
	s_mul_i32 s20, s13, s20
	s_add_u32 s20, s21, s20
	s_mul_hi_u32 s23, s13, s18
	s_addc_u32 s19, s19, s24
	s_addc_u32 s20, s23, 0
	s_mul_i32 s18, s13, s18
	s_add_u32 s23, s19, s18
	s_addc_u32 s24, 0, s20
	s_mul_i32 s18, s10, s24
	s_mul_hi_u32 s19, s10, s23
	s_add_i32 s18, s19, s18
	s_mul_i32 s19, s11, s23
	s_add_i32 s25, s18, s19
	s_sub_i32 s20, s13, s25
	s_mul_i32 s18, s10, s23
	s_sub_u32 s12, s12, s18
	s_cselect_b64 s[18:19], -1, 0
	s_cmp_lg_u64 s[18:19], 0
	s_subb_u32 s26, s20, s11
	s_sub_u32 s27, s12, s10
	s_cselect_b64 s[20:21], -1, 0
	s_cmp_lg_u64 s[20:21], 0
	s_subb_u32 s20, s26, 0
	s_cmp_ge_u32 s20, s11
	s_cselect_b32 s21, -1, 0
	s_cmp_ge_u32 s27, s10
	s_cselect_b32 s26, -1, 0
	s_cmp_eq_u32 s20, s11
	s_cselect_b32 s20, s26, s21
	s_add_u32 s21, s23, 1
	s_addc_u32 s26, s24, 0
	s_add_u32 s27, s23, 2
	s_addc_u32 s28, s24, 0
	s_cmp_lg_u32 s20, 0
	s_cselect_b32 s20, s27, s21
	s_cselect_b32 s21, s28, s26
	s_cmp_lg_u64 s[18:19], 0
	s_subb_u32 s13, s13, s25
	s_cmp_ge_u32 s13, s11
	s_cselect_b32 s18, -1, 0
	s_cmp_ge_u32 s12, s10
	s_cselect_b32 s10, -1, 0
	s_cmp_eq_u32 s13, s11
	s_cselect_b32 s10, s10, s18
	s_cmp_lg_u32 s10, 0
	s_cselect_b32 s11, s21, s24
	s_cselect_b32 s10, s20, s23
	s_xor_b64 s[12:13], s[14:15], 0
	s_xor_b64 s[10:11], s[10:11], s[12:13]
	s_sub_u32 s10, s10, s12
	s_load_dwordx4 s[12:15], s[4:5], 0x44
	s_cbranch_execnz .LBB21_3
.LBB21_2:
	v_cvt_f32_u32_e32 v1, s22
	s_sub_i32 s10, 0, s22
	v_rcp_iflag_f32_e32 v1, v1
	v_mul_f32_e32 v1, 0x4f7ffffe, v1
	v_cvt_u32_f32_e32 v1, v1
	v_readfirstlane_b32 s11, v1
	s_mul_i32 s10, s10, s11
	s_mul_hi_u32 s10, s11, s10
	s_add_i32 s11, s11, s10
	s_mul_hi_u32 s10, s9, s11
	s_waitcnt lgkmcnt(0)
	s_mul_i32 s15, s10, s22
	s_sub_i32 s9, s9, s15
	s_add_i32 s11, s10, 1
	s_sub_i32 s15, s9, s22
	s_cmp_ge_u32 s9, s22
	s_cselect_b32 s10, s11, s10
	s_cselect_b32 s9, s15, s9
	s_add_i32 s11, s10, 1
	s_cmp_ge_u32 s9, s22
	s_cselect_b32 s10, s11, s10
.LBB21_3:
	s_add_i32 s9, s6, 1
	s_mul_hi_i32 s21, s3, s9
	s_mov_b32 s20, 0
	s_cmp_lg_u64 s[20:21], 0
	s_mul_i32 s9, s3, s9
	s_cbranch_scc0 .LBB21_21
; %bb.4:
	s_add_u32 s16, s22, 0
	s_addc_u32 s17, 0, 0
	s_xor_b64 s[18:19], s[16:17], 0
	v_cvt_f32_u32_e32 v1, s18
	v_cvt_f32_u32_e32 v2, s19
	s_sub_u32 s11, 0, s18
	s_waitcnt lgkmcnt(0)
	s_subb_u32 s15, 0, s19
	v_madmk_f32 v1, v2, 0x4f800000, v1
	v_rcp_f32_e32 v1, v1
	v_mul_f32_e32 v1, 0x5f7ffffc, v1
	v_mul_f32_e32 v2, 0x2f800000, v1
	v_trunc_f32_e32 v2, v2
	v_madmk_f32 v1, v2, 0xcf800000, v1
	v_cvt_u32_f32_e32 v2, v2
	v_cvt_u32_f32_e32 v1, v1
	v_readfirstlane_b32 s20, v2
	v_readfirstlane_b32 s23, v1
	s_mul_i32 s24, s11, s20
	s_mul_hi_u32 s26, s11, s23
	s_mul_i32 s25, s15, s23
	s_add_i32 s24, s26, s24
	s_add_i32 s24, s24, s25
	s_mul_i32 s27, s11, s23
	s_mul_i32 s26, s23, s24
	s_mul_hi_u32 s28, s23, s27
	s_mul_hi_u32 s25, s23, s24
	s_add_u32 s26, s28, s26
	s_addc_u32 s25, 0, s25
	s_mul_hi_u32 s29, s20, s27
	s_mul_i32 s27, s20, s27
	s_add_u32 s26, s26, s27
	s_mul_hi_u32 s28, s20, s24
	s_addc_u32 s25, s25, s29
	s_addc_u32 s26, s28, 0
	s_mul_i32 s24, s20, s24
	s_add_u32 s24, s25, s24
	s_addc_u32 s26, 0, s26
	s_add_u32 s23, s23, s24
	s_cselect_b64 s[24:25], -1, 0
	s_cmp_lg_u64 s[24:25], 0
	s_addc_u32 s20, s20, s26
	s_mul_i32 s24, s11, s20
	s_mul_hi_u32 s25, s11, s23
	s_add_i32 s24, s25, s24
	s_mul_i32 s15, s15, s23
	s_add_i32 s24, s24, s15
	s_mul_i32 s11, s11, s23
	s_mul_hi_u32 s25, s20, s11
	s_mul_i32 s26, s20, s11
	s_mul_i32 s28, s23, s24
	s_mul_hi_u32 s11, s23, s11
	s_mul_hi_u32 s27, s23, s24
	s_add_u32 s11, s11, s28
	s_addc_u32 s27, 0, s27
	s_add_u32 s11, s11, s26
	s_mul_hi_u32 s15, s20, s24
	s_addc_u32 s11, s27, s25
	s_addc_u32 s15, s15, 0
	s_mul_i32 s24, s20, s24
	s_add_u32 s11, s11, s24
	s_addc_u32 s15, 0, s15
	s_add_u32 s11, s23, s11
	s_cselect_b64 s[24:25], -1, 0
	s_cmp_lg_u64 s[24:25], 0
	s_addc_u32 s15, s20, s15
	s_ashr_i32 s24, s21, 31
	s_add_u32 s20, s9, s24
	s_mov_b32 s25, s24
	s_addc_u32 s21, s21, s24
	s_xor_b64 s[20:21], s[20:21], s[24:25]
	s_mul_i32 s26, s20, s15
	s_mul_hi_u32 s27, s20, s11
	s_mul_hi_u32 s23, s20, s15
	s_add_u32 s26, s27, s26
	s_addc_u32 s23, 0, s23
	s_mul_hi_u32 s28, s21, s11
	s_mul_i32 s11, s21, s11
	s_add_u32 s11, s26, s11
	s_mul_hi_u32 s27, s21, s15
	s_addc_u32 s11, s23, s28
	s_addc_u32 s23, s27, 0
	s_mul_i32 s15, s21, s15
	s_add_u32 s11, s11, s15
	s_addc_u32 s15, 0, s23
	s_mul_i32 s23, s18, s15
	s_mul_hi_u32 s26, s18, s11
	s_add_i32 s23, s26, s23
	s_mul_i32 s26, s19, s11
	s_add_i32 s23, s23, s26
	s_sub_i32 s28, s21, s23
	s_mul_i32 s26, s18, s11
	s_sub_u32 s20, s20, s26
	s_cselect_b64 s[26:27], -1, 0
	s_cmp_lg_u64 s[26:27], 0
	s_subb_u32 s30, s28, s19
	s_sub_u32 s31, s20, s18
	s_cselect_b64 s[28:29], -1, 0
	s_cmp_lg_u64 s[28:29], 0
	s_subb_u32 s28, s30, 0
	s_cmp_ge_u32 s28, s19
	s_cselect_b32 s29, -1, 0
	s_cmp_ge_u32 s31, s18
	s_cselect_b32 s30, -1, 0
	s_cmp_eq_u32 s28, s19
	s_cselect_b32 s28, s30, s29
	s_add_u32 s29, s11, 1
	s_addc_u32 s30, s15, 0
	s_add_u32 s31, s11, 2
	s_addc_u32 s33, s15, 0
	s_cmp_lg_u32 s28, 0
	s_cselect_b32 s28, s31, s29
	s_cselect_b32 s29, s33, s30
	s_cmp_lg_u64 s[26:27], 0
	s_subb_u32 s21, s21, s23
	s_cmp_ge_u32 s21, s19
	s_cselect_b32 s23, -1, 0
	s_cmp_ge_u32 s20, s18
	s_cselect_b32 s18, -1, 0
	s_cmp_eq_u32 s21, s19
	s_cselect_b32 s18, s18, s23
	s_cmp_lg_u32 s18, 0
	s_cselect_b32 s19, s29, s15
	s_cselect_b32 s18, s28, s11
	s_xor_b64 s[20:21], s[24:25], 0
	s_xor_b64 s[18:19], s[18:19], s[20:21]
	s_sub_u32 s18, s18, s20
	s_cbranch_execnz .LBB21_6
.LBB21_5:
	v_cvt_f32_u32_e32 v1, s22
	s_sub_i32 s11, 0, s22
	v_rcp_iflag_f32_e32 v1, v1
	v_mul_f32_e32 v1, 0x4f7ffffe, v1
	v_cvt_u32_f32_e32 v1, v1
	s_waitcnt lgkmcnt(0)
	v_readfirstlane_b32 s15, v1
	s_mul_i32 s11, s11, s15
	s_mul_hi_u32 s11, s15, s11
	s_add_i32 s15, s15, s11
	s_mul_hi_u32 s11, s9, s15
	s_mul_i32 s16, s11, s22
	s_sub_i32 s9, s9, s16
	s_add_i32 s15, s11, 1
	s_sub_i32 s16, s9, s22
	s_cmp_ge_u32 s9, s22
	s_cselect_b32 s11, s15, s11
	s_cselect_b32 s9, s16, s9
	s_add_i32 s15, s11, 1
	s_cmp_ge_u32 s9, s22
	s_cselect_b32 s18, s15, s11
.LBB21_6:
	s_cmp_eq_u32 s10, s18
	s_waitcnt lgkmcnt(0)
	s_mul_hi_u32 s9, s10, s12
	s_cselect_b64 s[16:17], -1, 0
	s_add_i32 s9, s9, s10
	s_lshr_b32 s11, s9, s13
	s_mul_i32 s9, s11, s14
	s_cmp_eq_u32 s9, s10
	s_mul_hi_u32 s9, s18, s12
	s_cselect_b64 s[20:21], -1, 0
	s_add_i32 s9, s9, s18
	s_lshr_b32 s9, s9, s13
	s_cmp_eq_u32 s11, s9
	s_mul_i32 s9, s9, s14
	s_cselect_b64 s[24:25], -1, 0
	s_cmp_lg_u32 s9, s18
	s_cselect_b64 s[18:19], -1, 0
	s_and_b64 s[18:19], s[24:25], s[18:19]
	s_or_b64 s[16:17], s[16:17], s[20:21]
	s_or_b64 s[16:17], s[16:17], s[18:19]
	s_and_b64 vcc, exec, s[16:17]
	s_cbranch_vccnz .LBB21_23
; %bb.7:
	s_load_dwordx8 s[24:31], s[4:5], 0x20
	s_load_dword s15, s[4:5], 0x40
	s_waitcnt lgkmcnt(0)
	s_mul_hi_u32 s9, s10, s24
	s_add_i32 s9, s9, s10
	s_lshr_b32 s9, s9, s25
	s_mul_i32 s16, s9, s26
	s_sub_i32 s16, s10, s16
	s_mul_hi_u32 s17, s16, s27
	s_add_i32 s17, s16, s17
	s_lshr_b32 s24, s17, s28
	s_mul_i32 s17, s24, s29
	s_sub_i32 s16, s16, s17
	;; [unrolled: 5-line block ×3, first 2 shown]
	s_mul_hi_u32 s16, s15, s12
	s_add_i32 s15, s15, s16
	s_lshr_b32 s25, s15, s13
	s_lshl_b32 s15, s25, 1
	s_add_i32 s15, s15, s7
	s_cmp_lt_i32 s15, s0
	s_cselect_b64 s[16:17], -1, 0
	s_add_i32 s15, s23, s8
	s_cmp_lt_i32 s15, s2
	s_cselect_b64 s[18:19], -1, 0
	s_and_b64 s[16:17], s[16:17], s[18:19]
	s_andn2_b64 vcc, exec, s[16:17]
	s_cbranch_vccnz .LBB21_23
; %bb.8:
	s_load_dwordx4 s[16:19], s[4:5], 0x0
	s_mov_b32 s4, 0
	s_lshl_b32 s20, s22, 3
	s_mov_b32 s21, s4
	s_add_i32 s15, s7, s8
	s_lshl_b64 s[20:21], s[20:21], 2
	s_waitcnt lgkmcnt(0)
	s_add_u32 s20, s18, s20
	s_mul_i32 s0, s9, s0
	s_addc_u32 s21, s19, s21
	s_add_i32 s0, s0, s7
	s_mul_i32 s0, s0, s1
	s_mul_i32 s24, s24, s2
	s_add_i32 s0, s0, s8
	s_add_i32 s0, s0, s24
	s_mul_i32 s2, s1, s25
	s_add_i32 s0, s0, s23
	s_lshl_b32 s2, s2, 8
	s_lshl_b32 s0, s0, 7
	s_add_i32 s2, s2, s0
	v_or_b32_e32 v1, s2, v0
	v_ashrrev_i32_e32 v2, 31, v1
	v_lshlrev_b64 v[1:2], 2, v[1:2]
	v_mov_b32_e32 v3, s17
	v_add_co_u32_e32 v1, vcc, s16, v1
	v_addc_co_u32_e32 v2, vcc, v3, v2, vcc
	global_load_dword v3, v[1:2], off
	v_cvt_f32_u32_e32 v4, s22
	s_lshl_b32 s0, s6, 1
	s_add_i32 s0, s0, s15
	s_ashr_i32 s1, s0, 31
	s_lshl_b64 s[0:1], s[0:1], 3
	v_rcp_iflag_f32_e32 v4, v4
	s_add_u32 s0, s18, s0
	s_addc_u32 s1, s19, s1
	s_load_dwordx2 s[0:1], s[0:1], 0x0
	v_mul_f32_e32 v4, 0x4f7ffffe, v4
	v_cvt_u32_f32_e32 v4, v4
	s_add_i32 s24, s6, -1
	v_lshl_or_b32 v0, s15, 7, v0
	s_waitcnt lgkmcnt(0)
	v_mov_b32_e32 v6, s1
	v_mov_b32_e32 v7, s0
	s_mov_b32 s2, 0x3fb8aa3b
	s_mov_b32 s16, 0xc2ce8ed0
	;; [unrolled: 1-line block ×4, first 2 shown]
	v_mov_b32_e32 v5, 0x7f800000
	s_mul_hi_i32 s5, s24, s3
	s_cmp_lg_u64 s[4:5], 0
	s_mul_i32 s8, s24, s3
	s_cbranch_scc0 .LBB21_19
.LBB21_9:
	s_add_u32 s0, s22, 0
	s_addc_u32 s1, 0, 0
	s_xor_b64 s[0:1], s[0:1], 0
	v_cvt_f32_u32_e32 v8, s0
	v_cvt_f32_u32_e32 v9, s1
	s_sub_u32 s9, 0, s0
	s_subb_u32 s25, 0, s1
	v_mac_f32_e32 v8, 0x4f800000, v9
	v_rcp_f32_e32 v8, v8
	v_mul_f32_e32 v8, 0x5f7ffffc, v8
	v_mul_f32_e32 v9, 0x2f800000, v8
	v_trunc_f32_e32 v9, v9
	v_mac_f32_e32 v8, 0xcf800000, v9
	v_cvt_u32_f32_e32 v9, v9
	v_cvt_u32_f32_e32 v8, v8
	v_readfirstlane_b32 s26, v9
	v_readfirstlane_b32 s6, v8
	s_mul_i32 s7, s9, s26
	s_mul_hi_u32 s28, s9, s6
	s_mul_i32 s27, s25, s6
	s_add_i32 s7, s28, s7
	s_mul_i32 s29, s9, s6
	s_add_i32 s7, s7, s27
	s_mul_i32 s28, s6, s7
	s_mul_hi_u32 s30, s6, s29
	s_mul_hi_u32 s27, s6, s7
	s_add_u32 s28, s30, s28
	s_addc_u32 s27, 0, s27
	s_mul_hi_u32 s31, s26, s29
	s_mul_i32 s29, s26, s29
	s_add_u32 s28, s28, s29
	s_mul_hi_u32 s30, s26, s7
	s_addc_u32 s27, s27, s31
	s_addc_u32 s28, s30, 0
	s_mul_i32 s7, s26, s7
	s_add_u32 s7, s27, s7
	s_addc_u32 s27, 0, s28
	s_add_u32 s28, s6, s7
	s_cselect_b64 s[6:7], -1, 0
	s_cmp_lg_u64 s[6:7], 0
	s_addc_u32 s26, s26, s27
	s_mul_i32 s6, s9, s26
	s_mul_hi_u32 s7, s9, s28
	s_add_i32 s6, s7, s6
	s_mul_i32 s25, s25, s28
	s_add_i32 s6, s6, s25
	s_mul_i32 s9, s9, s28
	s_mul_hi_u32 s25, s26, s9
	s_mul_i32 s27, s26, s9
	s_mul_i32 s30, s28, s6
	s_mul_hi_u32 s9, s28, s9
	s_mul_hi_u32 s29, s28, s6
	s_add_u32 s9, s9, s30
	s_addc_u32 s29, 0, s29
	s_add_u32 s9, s9, s27
	s_mul_hi_u32 s7, s26, s6
	s_addc_u32 s9, s29, s25
	s_addc_u32 s7, s7, 0
	s_mul_i32 s6, s26, s6
	s_add_u32 s6, s9, s6
	s_addc_u32 s9, 0, s7
	s_add_u32 s25, s28, s6
	s_cselect_b64 s[6:7], -1, 0
	s_cmp_lg_u64 s[6:7], 0
	s_addc_u32 s9, s26, s9
	s_ashr_i32 s6, s5, 31
	s_add_u32 s26, s8, s6
	s_mov_b32 s7, s6
	s_addc_u32 s27, s5, s6
	s_xor_b64 s[26:27], s[26:27], s[6:7]
	s_mul_i32 s28, s26, s9
	s_mul_hi_u32 s29, s26, s25
	s_mul_hi_u32 s5, s26, s9
	s_add_u32 s28, s29, s28
	s_addc_u32 s5, 0, s5
	s_mul_hi_u32 s30, s27, s25
	s_mul_i32 s25, s27, s25
	s_add_u32 s25, s28, s25
	s_mul_hi_u32 s29, s27, s9
	s_addc_u32 s5, s5, s30
	s_addc_u32 s25, s29, 0
	s_mul_i32 s9, s27, s9
	s_add_u32 s5, s5, s9
	s_addc_u32 s9, 0, s25
	s_mul_i32 s25, s0, s9
	s_mul_hi_u32 s28, s0, s5
	s_add_i32 s25, s28, s25
	s_mul_i32 s28, s1, s5
	s_add_i32 s25, s25, s28
	s_sub_i32 s30, s27, s25
	s_mul_i32 s28, s0, s5
	s_sub_u32 s26, s26, s28
	s_cselect_b64 s[28:29], -1, 0
	s_cmp_lg_u64 s[28:29], 0
	s_subb_u32 s33, s30, s1
	s_sub_u32 s34, s26, s0
	s_cselect_b64 s[30:31], -1, 0
	s_cmp_lg_u64 s[30:31], 0
	s_subb_u32 s30, s33, 0
	s_cmp_ge_u32 s30, s1
	s_cselect_b32 s31, -1, 0
	s_cmp_ge_u32 s34, s0
	s_cselect_b32 s33, -1, 0
	s_cmp_eq_u32 s30, s1
	s_cselect_b32 s30, s33, s31
	s_add_u32 s31, s5, 1
	s_addc_u32 s33, s9, 0
	s_add_u32 s34, s5, 2
	s_addc_u32 s35, s9, 0
	s_cmp_lg_u32 s30, 0
	s_cselect_b32 s30, s34, s31
	s_cselect_b32 s31, s35, s33
	s_cmp_lg_u64 s[28:29], 0
	s_subb_u32 s25, s27, s25
	s_cmp_ge_u32 s25, s1
	s_cselect_b32 s27, -1, 0
	s_cmp_ge_u32 s26, s0
	s_cselect_b32 s0, -1, 0
	s_cmp_eq_u32 s25, s1
	s_cselect_b32 s0, s0, s27
	s_cmp_lg_u32 s0, 0
	s_cselect_b32 s1, s31, s9
	s_cselect_b32 s0, s30, s5
	s_xor_b64 s[6:7], s[6:7], 0
	s_xor_b64 s[0:1], s[0:1], s[6:7]
	s_sub_u32 s6, s0, s6
	s_cbranch_execnz .LBB21_11
.LBB21_10:
	s_sub_i32 s0, 0, s22
	v_readfirstlane_b32 s1, v4
	s_mul_i32 s0, s0, s1
	s_mul_hi_u32 s0, s1, s0
	s_add_i32 s1, s1, s0
	s_mul_hi_u32 s0, s8, s1
	s_mul_i32 s5, s0, s22
	s_sub_i32 s5, s8, s5
	s_add_i32 s1, s0, 1
	s_sub_i32 s6, s5, s22
	s_cmp_ge_u32 s5, s22
	s_cselect_b32 s0, s1, s0
	s_cselect_b32 s5, s6, s5
	s_add_i32 s1, s0, 1
	s_cmp_ge_u32 s5, s22
	s_cselect_b32 s6, s1, s0
.LBB21_11:
	s_cmp_lg_u32 s10, s6
	s_mov_b64 s[8:9], -1
                                        ; implicit-def: $sgpr0_sgpr1
                                        ; implicit-def: $vgpr10
                                        ; implicit-def: $vgpr8
                                        ; implicit-def: $vgpr9
                                        ; implicit-def: $sgpr5
                                        ; implicit-def: $sgpr7
	s_cbranch_scc1 .LBB21_14
; %bb.12:
	s_andn2_b64 vcc, exec, s[8:9]
	s_cbranch_vccz .LBB21_17
.LBB21_13:
	s_andn2_b64 vcc, exec, s[0:1]
	s_cbranch_vccnz .LBB21_18
	s_branch .LBB21_22
.LBB21_14:
	s_add_i32 s0, s24, s22
	s_lshl_b32 s0, s0, 1
	s_add_i32 s0, s0, s15
	s_mov_b32 s1, s4
	s_lshl_b64 s[0:1], s[0:1], 3
	s_add_u32 s8, s18, s0
	s_mul_hi_u32 s0, s6, s12
	s_addc_u32 s9, s19, s1
	s_add_i32 s0, s0, s6
	s_lshr_b32 s5, s0, s13
	s_mul_i32 s0, s5, s14
	s_cmp_eq_u32 s0, s6
	s_cselect_b64 s[0:1], -1, 0
	s_cmp_lt_u32 s5, s11
	s_cselect_b64 s[26:27], -1, 0
	s_or_b64 s[26:27], s[26:27], s[0:1]
	s_mov_b64 s[0:1], -1
	s_and_b64 vcc, exec, s[26:27]
	s_mov_b32 s5, s24
	s_mov_b32 s7, s10
	s_cbranch_vccnz .LBB21_16
; %bb.15:
	s_add_i32 s5, s24, -1
	s_mov_b64 s[0:1], 0
	s_mov_b32 s7, s6
.LBB21_16:
	v_lshl_add_u32 v8, s24, 8, v0
	v_ashrrev_i32_e32 v9, 31, v8
	v_lshlrev_b64 v[8:9], 2, v[8:9]
	v_mov_b32_e32 v10, s21
	v_add_co_u32_e32 v8, vcc, s20, v8
	v_addc_co_u32_e32 v9, vcc, v10, v9, vcc
	global_load_dword v10, v[8:9], off
	s_load_dwordx2 s[8:9], s[8:9], 0x0
	v_max_f32_e32 v8, v7, v7
	s_waitcnt lgkmcnt(0)
	v_max_f32_e64 v9, s8, s8
	v_max_f32_e32 v8, v8, v9
	v_sub_f32_e32 v9, v7, v8
	v_sub_f32_e32 v11, s8, v8
	v_mul_f32_e32 v12, 0x3fb8aa3b, v9
	v_mul_f32_e32 v13, 0x3fb8aa3b, v11
	v_fma_f32 v14, v9, s2, -v12
	v_rndne_f32_e32 v15, v12
	v_fma_f32 v16, v11, s2, -v13
	v_rndne_f32_e32 v17, v13
	v_fmac_f32_e32 v14, 0x32a5705f, v9
	v_sub_f32_e32 v12, v12, v15
	v_fmac_f32_e32 v16, 0x32a5705f, v11
	v_sub_f32_e32 v13, v13, v17
	v_add_f32_e32 v12, v12, v14
	v_cvt_i32_f32_e32 v15, v15
	v_add_f32_e32 v13, v13, v16
	v_exp_f32_e32 v12, v12
	v_cvt_i32_f32_e32 v17, v17
	v_exp_f32_e32 v13, v13
	v_cmp_ngt_f32_e32 vcc, s16, v9
	v_ldexp_f32 v12, v12, v15
	v_cndmask_b32_e32 v12, 0, v12, vcc
	v_ldexp_f32 v13, v13, v17
	v_cmp_ngt_f32_e32 vcc, s16, v11
	v_cndmask_b32_e32 v13, 0, v13, vcc
	v_cmp_nlt_f32_e32 vcc, s17, v9
	v_cndmask_b32_e32 v12, v5, v12, vcc
	v_cmp_nlt_f32_e32 vcc, s17, v11
	v_cndmask_b32_e32 v13, v5, v13, vcc
	v_cmp_le_f32_e32 vcc, s23, v9
	v_cndmask_b32_e32 v12, 0, v12, vcc
	v_cmp_le_f32_e32 vcc, s23, v11
	v_cndmask_b32_e32 v11, 0, v13, vcc
	v_mul_f32_e32 v9, s9, v11
	v_fmac_f32_e32 v9, v6, v12
	s_waitcnt vmcnt(0)
	v_mul_f32_e32 v10, v10, v11
	v_fmac_f32_e32 v10, v3, v12
	s_cbranch_execnz .LBB21_13
.LBB21_17:
	s_add_i32 s5, s24, -1
	s_mov_b32 s7, s10
	v_mov_b32_e32 v9, v6
	v_mov_b32_e32 v8, v7
	s_waitcnt vmcnt(0)
	v_mov_b32_e32 v10, v3
	s_cbranch_execz .LBB21_22
.LBB21_18:
	s_mov_b32 s10, s7
	s_mov_b32 s24, s5
	v_mov_b32_e32 v6, v9
	v_mov_b32_e32 v7, v8
	s_waitcnt vmcnt(0)
	v_mov_b32_e32 v3, v10
	s_mul_hi_i32 s5, s24, s3
	s_cmp_lg_u64 s[4:5], 0
	s_mul_i32 s8, s24, s3
	s_cbranch_scc1 .LBB21_9
.LBB21_19:
                                        ; implicit-def: $sgpr6_sgpr7
	s_branch .LBB21_10
.LBB21_20:
                                        ; implicit-def: $sgpr10_sgpr11
	s_load_dwordx4 s[12:15], s[4:5], 0x44
	s_branch .LBB21_2
.LBB21_21:
                                        ; implicit-def: $sgpr18_sgpr19
	s_branch .LBB21_5
.LBB21_22:
	v_div_scale_f32 v0, s[0:1], v9, v9, v10
	s_waitcnt vmcnt(0)
	v_div_scale_f32 v3, vcc, v10, v9, v10
	v_rcp_f32_e32 v4, v0
	v_fma_f32 v5, -v0, v4, 1.0
	v_fmac_f32_e32 v4, v5, v4
	v_mul_f32_e32 v5, v3, v4
	v_fma_f32 v6, -v0, v5, v3
	v_fmac_f32_e32 v5, v6, v4
	v_fma_f32 v0, -v0, v5, v3
	v_div_fmas_f32 v0, v0, v4, v5
	v_div_fixup_f32 v0, v0, v9, v10
	global_store_dword v[1:2], v0, off
.LBB21_23:
	s_endpgm
	.section	.rodata,"a",@progbits
	.p2align	6, 0x0
	.amdhsa_kernel _ZL33flash_attn_stream_k_fixup_generalILi128ELi2ELi1EEvPfPK15HIP_vector_typeIfLj2EEiiiiS1_IjLj3EES5_S5_S5_
		.amdhsa_group_segment_fixed_size 0
		.amdhsa_private_segment_fixed_size 0
		.amdhsa_kernarg_size 336
		.amdhsa_user_sgpr_count 6
		.amdhsa_user_sgpr_private_segment_buffer 1
		.amdhsa_user_sgpr_dispatch_ptr 0
		.amdhsa_user_sgpr_queue_ptr 0
		.amdhsa_user_sgpr_kernarg_segment_ptr 1
		.amdhsa_user_sgpr_dispatch_id 0
		.amdhsa_user_sgpr_flat_scratch_init 0
		.amdhsa_user_sgpr_private_segment_size 0
		.amdhsa_uses_dynamic_stack 0
		.amdhsa_system_sgpr_private_segment_wavefront_offset 0
		.amdhsa_system_sgpr_workgroup_id_x 1
		.amdhsa_system_sgpr_workgroup_id_y 1
		.amdhsa_system_sgpr_workgroup_id_z 1
		.amdhsa_system_sgpr_workgroup_info 0
		.amdhsa_system_vgpr_workitem_id 0
		.amdhsa_next_free_vgpr 18
		.amdhsa_next_free_sgpr 36
		.amdhsa_reserve_vcc 1
		.amdhsa_reserve_flat_scratch 0
		.amdhsa_float_round_mode_32 0
		.amdhsa_float_round_mode_16_64 0
		.amdhsa_float_denorm_mode_32 3
		.amdhsa_float_denorm_mode_16_64 3
		.amdhsa_dx10_clamp 1
		.amdhsa_ieee_mode 1
		.amdhsa_fp16_overflow 0
		.amdhsa_exception_fp_ieee_invalid_op 0
		.amdhsa_exception_fp_denorm_src 0
		.amdhsa_exception_fp_ieee_div_zero 0
		.amdhsa_exception_fp_ieee_overflow 0
		.amdhsa_exception_fp_ieee_underflow 0
		.amdhsa_exception_fp_ieee_inexact 0
		.amdhsa_exception_int_div_zero 0
	.end_amdhsa_kernel
	.section	.text._ZL33flash_attn_stream_k_fixup_generalILi128ELi2ELi1EEvPfPK15HIP_vector_typeIfLj2EEiiiiS1_IjLj3EES5_S5_S5_,"axG",@progbits,_ZL33flash_attn_stream_k_fixup_generalILi128ELi2ELi1EEvPfPK15HIP_vector_typeIfLj2EEiiiiS1_IjLj3EES5_S5_S5_,comdat
.Lfunc_end21:
	.size	_ZL33flash_attn_stream_k_fixup_generalILi128ELi2ELi1EEvPfPK15HIP_vector_typeIfLj2EEiiiiS1_IjLj3EES5_S5_S5_, .Lfunc_end21-_ZL33flash_attn_stream_k_fixup_generalILi128ELi2ELi1EEvPfPK15HIP_vector_typeIfLj2EEiiiiS1_IjLj3EES5_S5_S5_
                                        ; -- End function
	.set _ZL33flash_attn_stream_k_fixup_generalILi128ELi2ELi1EEvPfPK15HIP_vector_typeIfLj2EEiiiiS1_IjLj3EES5_S5_S5_.num_vgpr, 18
	.set _ZL33flash_attn_stream_k_fixup_generalILi128ELi2ELi1EEvPfPK15HIP_vector_typeIfLj2EEiiiiS1_IjLj3EES5_S5_S5_.num_agpr, 0
	.set _ZL33flash_attn_stream_k_fixup_generalILi128ELi2ELi1EEvPfPK15HIP_vector_typeIfLj2EEiiiiS1_IjLj3EES5_S5_S5_.numbered_sgpr, 36
	.set _ZL33flash_attn_stream_k_fixup_generalILi128ELi2ELi1EEvPfPK15HIP_vector_typeIfLj2EEiiiiS1_IjLj3EES5_S5_S5_.num_named_barrier, 0
	.set _ZL33flash_attn_stream_k_fixup_generalILi128ELi2ELi1EEvPfPK15HIP_vector_typeIfLj2EEiiiiS1_IjLj3EES5_S5_S5_.private_seg_size, 0
	.set _ZL33flash_attn_stream_k_fixup_generalILi128ELi2ELi1EEvPfPK15HIP_vector_typeIfLj2EEiiiiS1_IjLj3EES5_S5_S5_.uses_vcc, 1
	.set _ZL33flash_attn_stream_k_fixup_generalILi128ELi2ELi1EEvPfPK15HIP_vector_typeIfLj2EEiiiiS1_IjLj3EES5_S5_S5_.uses_flat_scratch, 0
	.set _ZL33flash_attn_stream_k_fixup_generalILi128ELi2ELi1EEvPfPK15HIP_vector_typeIfLj2EEiiiiS1_IjLj3EES5_S5_S5_.has_dyn_sized_stack, 0
	.set _ZL33flash_attn_stream_k_fixup_generalILi128ELi2ELi1EEvPfPK15HIP_vector_typeIfLj2EEiiiiS1_IjLj3EES5_S5_S5_.has_recursion, 0
	.set _ZL33flash_attn_stream_k_fixup_generalILi128ELi2ELi1EEvPfPK15HIP_vector_typeIfLj2EEiiiiS1_IjLj3EES5_S5_S5_.has_indirect_call, 0
	.section	.AMDGPU.csdata,"",@progbits
; Kernel info:
; codeLenInByte = 2932
; TotalNumSgprs: 40
; NumVgprs: 18
; ScratchSize: 0
; MemoryBound: 0
; FloatMode: 240
; IeeeMode: 1
; LDSByteSize: 0 bytes/workgroup (compile time only)
; SGPRBlocks: 4
; VGPRBlocks: 4
; NumSGPRsForWavesPerEU: 40
; NumVGPRsForWavesPerEU: 18
; Occupancy: 10
; WaveLimiterHint : 0
; COMPUTE_PGM_RSRC2:SCRATCH_EN: 0
; COMPUTE_PGM_RSRC2:USER_SGPR: 6
; COMPUTE_PGM_RSRC2:TRAP_HANDLER: 0
; COMPUTE_PGM_RSRC2:TGID_X_EN: 1
; COMPUTE_PGM_RSRC2:TGID_Y_EN: 1
; COMPUTE_PGM_RSRC2:TGID_Z_EN: 1
; COMPUTE_PGM_RSRC2:TIDIG_COMP_CNT: 0
	.section	.text._ZL18flash_attn_ext_vecILi128ELi2EL9ggml_type2ELS0_8ELb1EEvPKcS2_S2_S2_S2_PKiPfP15HIP_vector_typeIfLj2EEffffjfiS6_IjLj3EEiiiiiiiiiiiliiliiiiil,"axG",@progbits,_ZL18flash_attn_ext_vecILi128ELi2EL9ggml_type2ELS0_8ELb1EEvPKcS2_S2_S2_S2_PKiPfP15HIP_vector_typeIfLj2EEffffjfiS6_IjLj3EEiiiiiiiiiiiliiliiiiil,comdat
	.globl	_ZL18flash_attn_ext_vecILi128ELi2EL9ggml_type2ELS0_8ELb1EEvPKcS2_S2_S2_S2_PKiPfP15HIP_vector_typeIfLj2EEffffjfiS6_IjLj3EEiiiiiiiiiiiliiliiiiil ; -- Begin function _ZL18flash_attn_ext_vecILi128ELi2EL9ggml_type2ELS0_8ELb1EEvPKcS2_S2_S2_S2_PKiPfP15HIP_vector_typeIfLj2EEffffjfiS6_IjLj3EEiiiiiiiiiiiliiliiiiil
	.p2align	8
	.type	_ZL18flash_attn_ext_vecILi128ELi2EL9ggml_type2ELS0_8ELb1EEvPKcS2_S2_S2_S2_PKiPfP15HIP_vector_typeIfLj2EEffffjfiS6_IjLj3EEiiiiiiiiiiiliiliiiiil,@function
_ZL18flash_attn_ext_vecILi128ELi2EL9ggml_type2ELS0_8ELb1EEvPKcS2_S2_S2_S2_PKiPfP15HIP_vector_typeIfLj2EEffffjfiS6_IjLj3EEiiiiiiiiiiiliiliiiiil: ; @_ZL18flash_attn_ext_vecILi128ELi2EL9ggml_type2ELS0_8ELb1EEvPKcS2_S2_S2_S2_PKiPfP15HIP_vector_typeIfLj2EEffffjfiS6_IjLj3EEiiiiiiiiiiiliiliiiiil
; %bb.0:
	s_load_dwordx2 s[22:23], s[4:5], 0x64
	s_load_dwordx2 s[54:55], s[4:5], 0x80
	;; [unrolled: 1-line block ×3, first 2 shown]
	s_add_u32 s0, s0, s9
	s_addc_u32 s1, s1, 0
	s_waitcnt lgkmcnt(0)
	v_cvt_f32_u32_e32 v2, s23
	s_sub_i32 s9, 0, s23
	v_mov_b32_e32 v56, 1.0
	v_rcp_iflag_f32_e32 v2, v2
	v_mul_f32_e32 v2, 0x4f7ffffe, v2
	v_cvt_u32_f32_e32 v2, v2
	v_readfirstlane_b32 s10, v2
	s_mul_i32 s9, s9, s10
	s_mul_hi_u32 s9, s10, s9
	s_add_i32 s10, s10, s9
	s_mul_hi_u32 s9, s8, s10
	s_mul_i32 s10, s9, s23
	s_sub_i32 s10, s8, s10
	s_add_i32 s11, s9, 1
	s_sub_i32 s12, s10, s23
	s_cmp_ge_u32 s10, s23
	s_cselect_b32 s9, s11, s9
	s_cselect_b32 s10, s12, s10
	s_add_i32 s11, s9, 1
	s_cmp_ge_u32 s10, s23
	s_cselect_b32 s33, s11, s9
	s_abs_i32 s9, s55
	v_cvt_f32_u32_e32 v2, s9
	s_mul_i32 s12, s33, s23
	s_sub_i32 s13, 0, s9
	s_sub_i32 s24, s8, s12
	v_rcp_iflag_f32_e32 v2, v2
	s_abs_i32 s11, s23
	s_xor_b32 s10, s23, s55
	s_ashr_i32 s10, s10, 31
	v_mul_f32_e32 v2, 0x4f7ffffe, v2
	v_cvt_u32_f32_e32 v2, v2
	v_readfirstlane_b32 s8, v2
	s_mul_i32 s13, s13, s8
	s_mul_hi_u32 s12, s8, s13
	s_add_i32 s8, s8, s12
	s_mul_hi_u32 s8, s11, s8
	s_mul_i32 s12, s8, s9
	s_sub_i32 s11, s11, s12
	s_add_i32 s13, s8, 1
	s_sub_i32 s12, s11, s9
	s_cmp_ge_u32 s11, s9
	s_cselect_b32 s8, s13, s8
	s_cselect_b32 s11, s12, s11
	s_add_i32 s12, s8, 1
	s_cmp_ge_u32 s11, s9
	s_cselect_b32 s8, s12, s8
	s_xor_b32 s8, s8, s10
	s_sub_i32 s35, s8, s10
	s_abs_i32 s30, s30
	s_abs_i32 s34, s35
	v_cvt_f32_u32_e32 v2, s30
	v_cvt_f32_u32_e32 v3, s34
	s_load_dwordx4 s[12:15], s[4:5], 0x40
	s_load_dwordx2 s[26:27], s[4:5], 0x50
	v_rcp_iflag_f32_e32 v2, v2
	v_rcp_iflag_f32_e32 v3, v3
	s_waitcnt lgkmcnt(0)
	v_cmp_le_f32_e64 s[8:9], s13, 0
	s_and_b64 vcc, exec, s[8:9]
	v_mul_f32_e32 v2, 0x4f7ffffe, v2
	v_mul_f32_e32 v3, 0x4f7ffffe, v3
	v_cvt_u32_f32_e32 v2, v2
	v_cvt_u32_f32_e32 v3, v3
	v_readfirstlane_b32 s18, v2
	v_readfirstlane_b32 s19, v3
	s_cbranch_vccnz .LBB22_2
; %bb.1:
	v_mov_b32_e32 v2, s26
	v_sub_co_u32_e32 v2, vcc, s24, v2
	v_mov_b32_e32 v3, s15
	v_mov_b32_e32 v4, s14
	s_add_i32 s8, s24, 1
	v_lshlrev_b32_e32 v2, 1, v2
	v_cndmask_b32_e32 v3, v3, v4, vcc
	v_or_b32_e32 v2, 1, v2
	v_mov_b32_e32 v4, s8
	v_cndmask_b32_e32 v2, v2, v4, vcc
	v_cvt_f32_i32_e32 v2, v2
	v_cmp_neq_f32_e32 vcc, 1.0, v3
	s_mov_b32 s8, 0x3f2aaaab
	s_movk_i32 s10, 0x204
	v_cndmask_b32_e32 v4, 1.0, v2, vcc
	v_cmp_neq_f32_e32 vcc, 0, v4
	v_cndmask_b32_e32 v5, 1.0, v3, vcc
	v_frexp_mant_f32_e64 v2, |v5|
	v_cmp_gt_f32_e32 vcc, s8, v2
	v_cndmask_b32_e64 v3, 1.0, 2.0, vcc
	v_mul_f32_e32 v2, v2, v3
	v_add_f32_e32 v3, 1.0, v2
	v_rcp_f32_e32 v6, v3
	v_add_f32_e32 v7, -1.0, v2
	v_add_f32_e32 v8, -1.0, v3
	v_sub_f32_e32 v2, v2, v8
	v_mul_f32_e32 v8, v7, v6
	v_mul_f32_e32 v9, v3, v8
	v_fma_f32 v3, v8, v3, -v9
	v_fmac_f32_e32 v3, v8, v2
	v_add_f32_e32 v2, v9, v3
	v_sub_f32_e32 v10, v7, v2
	v_sub_f32_e32 v9, v2, v9
	;; [unrolled: 1-line block ×5, first 2 shown]
	v_add_f32_e32 v2, v3, v2
	v_add_f32_e32 v2, v10, v2
	v_mul_f32_e32 v2, v6, v2
	v_add_f32_e32 v6, v8, v2
	v_sub_f32_e32 v3, v6, v8
	v_sub_f32_e32 v7, v2, v3
	v_mul_f32_e32 v2, v6, v6
	v_fma_f32 v3, v6, v6, -v2
	v_add_f32_e32 v8, v7, v7
	v_fmac_f32_e32 v3, v6, v8
	v_add_f32_e32 v8, v2, v3
	v_mov_b32_e32 v9, 0x3e91f4c4
	v_sub_f32_e32 v2, v8, v2
	v_fmac_f32_e32 v9, 0x3e76c4e1, v8
	v_mov_b32_e32 v10, 0x3ecccdef
	v_sub_f32_e32 v2, v3, v2
	v_mul_f32_e32 v3, v6, v8
	v_fmac_f32_e32 v10, v8, v9
	v_fma_f32 v9, v8, v6, -v3
	v_fmac_f32_e32 v9, v8, v7
	v_fmac_f32_e32 v9, v2, v6
	v_add_f32_e32 v11, v3, v9
	v_sub_f32_e32 v3, v11, v3
	v_sub_f32_e32 v9, v9, v3
	v_mul_f32_e32 v3, v8, v10
	v_fma_f32 v8, v8, v10, -v3
	v_fmac_f32_e32 v8, v2, v10
	v_add_f32_e32 v10, v3, v8
	v_sub_f32_e32 v2, v10, v3
	v_sub_f32_e32 v8, v8, v2
	v_cvt_f64_f32_e64 v[2:3], |v5|
	v_add_f32_e32 v12, 0x3f2aaaaa, v10
	v_add_f32_e32 v13, 0xbf2aaaaa, v12
	;; [unrolled: 1-line block ×3, first 2 shown]
	v_frexp_exp_i32_f64_e32 v2, v[2:3]
	v_sub_f32_e32 v10, v10, v13
	v_add_f32_e32 v3, v8, v10
	v_add_f32_e32 v8, v12, v3
	v_sub_f32_e32 v10, v12, v8
	v_add_f32_e32 v3, v3, v10
	v_mul_f32_e32 v10, v11, v8
	v_fma_f32 v12, v11, v8, -v10
	v_subbrev_co_u32_e32 v2, vcc, 0, v2, vcc
	v_cvt_f32_i32_e32 v2, v2
	v_fmac_f32_e32 v12, v11, v3
	s_mov_b32 s8, 0x3f317218
	v_fmac_f32_e32 v12, v9, v8
	v_mul_f32_e32 v3, 0x3f317218, v2
	v_fma_f32 v8, v2, s8, -v3
	v_fmac_f32_e32 v8, 0xb102e308, v2
	v_ldexp_f32 v2, v7, 1
	v_add_f32_e32 v7, v3, v8
	v_sub_f32_e32 v3, v7, v3
	v_ldexp_f32 v6, v6, 1
	v_sub_f32_e32 v3, v8, v3
	v_add_f32_e32 v8, v10, v12
	v_sub_f32_e32 v9, v8, v10
	v_add_f32_e32 v10, v6, v8
	v_sub_f32_e32 v9, v12, v9
	v_sub_f32_e32 v6, v10, v6
	;; [unrolled: 1-line block ×3, first 2 shown]
	v_add_f32_e32 v2, v2, v9
	v_add_f32_e32 v2, v2, v6
	;; [unrolled: 1-line block ×3, first 2 shown]
	v_sub_f32_e32 v8, v6, v10
	v_sub_f32_e32 v2, v2, v8
	v_add_f32_e32 v8, v7, v6
	v_sub_f32_e32 v9, v8, v7
	v_sub_f32_e32 v10, v8, v9
	;; [unrolled: 1-line block ×4, first 2 shown]
	v_add_f32_e32 v6, v6, v7
	v_add_f32_e32 v7, v3, v2
	v_sub_f32_e32 v9, v7, v3
	v_sub_f32_e32 v10, v7, v9
	;; [unrolled: 1-line block ×4, first 2 shown]
	v_add_f32_e32 v2, v2, v3
	v_add_f32_e32 v3, v7, v6
	;; [unrolled: 1-line block ×3, first 2 shown]
	v_sub_f32_e32 v7, v6, v8
	v_sub_f32_e32 v3, v3, v7
	v_add_f32_e32 v2, v2, v3
	v_add_f32_e32 v3, v6, v2
	v_sub_f32_e32 v6, v3, v6
	v_sub_f32_e32 v2, v2, v6
	v_mul_f32_e32 v6, v4, v3
	v_fma_f32 v3, v4, v3, -v6
	v_fmac_f32_e32 v3, v4, v2
	v_add_f32_e32 v2, v6, v3
	v_cmp_class_f32_e64 vcc, v6, s10
	v_sub_f32_e32 v7, v2, v6
	v_cndmask_b32_e32 v2, v2, v6, vcc
	s_mov_b32 s9, 0x42b17218
	v_mov_b32_e32 v6, 0x37000000
	v_cmp_eq_f32_e32 vcc, s9, v2
	v_cndmask_b32_e32 v6, 0, v6, vcc
	v_sub_f32_e32 v3, v3, v7
	v_sub_f32_e32 v7, v2, v6
	s_mov_b32 s11, 0x3fb8aa3b
	v_mul_f32_e32 v8, 0x3fb8aa3b, v7
	v_fma_f32 v9, v7, s11, -v8
	v_rndne_f32_e32 v10, v8
	v_fmac_f32_e32 v9, 0x32a5705f, v7
	v_sub_f32_e32 v8, v8, v10
	v_add_f32_e32 v8, v8, v9
	v_exp_f32_e32 v8, v8
	v_cvt_i32_f32_e32 v9, v10
	s_mov_b32 s8, 0x7f800000
	v_cmp_neq_f32_e64 vcc, |v2|, s8
	s_mov_b32 s8, 0xc2ce8ed0
	v_cndmask_b32_e32 v2, 0, v3, vcc
	v_ldexp_f32 v3, v8, v9
	v_cmp_ngt_f32_e32 vcc, s8, v7
	v_add_f32_e32 v2, v6, v2
	v_cndmask_b32_e32 v3, 0, v3, vcc
	v_mov_b32_e32 v6, 0x7f800000
	v_cmp_nlt_f32_e32 vcc, s9, v7
	v_cndmask_b32_e32 v3, v6, v3, vcc
	v_fma_f32 v2, v3, v2, v3
	v_cmp_class_f32_e64 vcc, v3, s10
	v_cndmask_b32_e32 v2, v2, v3, vcc
	v_trunc_f32_e32 v3, v4
	v_cmp_eq_f32_e32 vcc, v3, v4
	v_mul_f32_e32 v3, 0.5, v4
	v_trunc_f32_e32 v8, v3
	v_cmp_neq_f32_e64 s[8:9], v8, v3
	s_and_b64 s[8:9], vcc, s[8:9]
	v_cndmask_b32_e64 v3, 1.0, v5, s[8:9]
	s_brev_b32 s13, -2
	v_mov_b32_e32 v7, 0x7fc00000
	v_bfi_b32 v2, s13, v2, v3
	v_cndmask_b32_e32 v3, v7, v2, vcc
	v_cmp_gt_f32_e32 vcc, 0, v5
	v_cndmask_b32_e32 v2, v2, v3, vcc
	v_cmp_class_f32_e64 s[14:15], v5, s10
	v_cmp_eq_f32_e32 vcc, 0, v5
	v_cmp_gt_f32_e64 s[10:11], 0, v4
	s_xor_b64 s[10:11], s[10:11], vcc
	v_cndmask_b32_e64 v3, v6, 0, s[10:11]
	v_cndmask_b32_e64 v4, 0, v5, s[8:9]
	v_bfi_b32 v3, s13, v3, v4
	s_or_b64 vcc, vcc, s[14:15]
	v_cndmask_b32_e32 v2, v2, v3, vcc
	v_cmp_o_f32_e32 vcc, v5, v5
	v_cndmask_b32_e32 v56, v7, v2, vcc
.LBB22_2:
	s_load_dwordx16 s[36:51], s[4:5], 0x0
	s_lshl_b32 s26, s6, 1
	v_mov_b32_e32 v14, 0
	v_cmp_lt_u32_e64 s[20:21], 1, v1
	v_cmp_gt_u32_e32 vcc, 2, v1
	v_lshlrev_b32_e32 v52, 8, v1
	v_lshlrev_b32_e32 v54, 2, v0
	buffer_store_dword v14, off, s[0:3], 0
	buffer_store_dword v14, off, s[0:3], 0 offset:4
	buffer_store_dword v14, off, s[0:3], 0 offset:8
	;; [unrolled: 1-line block ×3, first 2 shown]
	s_and_saveexec_b64 s[14:15], vcc
	s_cbranch_execz .LBB22_13
; %bb.3:
	v_or_b32_e32 v2, s26, v1
	v_cmp_le_i32_e32 vcc, s22, v2
	v_add_u32_e32 v3, v52, v54
	s_and_saveexec_b64 s[8:9], vcc
	s_xor_b64 s[8:9], exec, s[8:9]
	s_cbranch_execz .LBB22_7
; %bb.4:
	v_cmp_gt_u32_e32 vcc, 4, v0
	v_mov_b32_e32 v2, 0
	ds_write_b32 v3, v2
	s_and_saveexec_b64 s[10:11], vcc
; %bb.5:
	v_add_u32_e32 v4, v3, v54
	v_mov_b32_e32 v3, v2
	ds_write_b64 v4, v[2:3] offset:128
; %bb.6:
	s_or_b64 exec, exec, s[10:11]
                                        ; implicit-def: $vgpr3
.LBB22_7:
	s_andn2_saveexec_b64 s[8:9], s[8:9]
	s_cbranch_execz .LBB22_13
; %bb.8:
	s_load_dwordx4 s[8:11], s[4:5], 0x70
	s_waitcnt lgkmcnt(0)
	s_mul_i32 s10, s33, s10
	s_mul_i32 s11, s8, s26
	;; [unrolled: 1-line block ×3, first 2 shown]
	v_mul_lo_u32 v2, s8, v1
	s_add_i32 s8, s10, s11
	s_add_i32 s8, s8, s9
	s_ashr_i32 s9, s8, 31
	s_add_u32 s8, s36, s8
	s_addc_u32 s9, s37, s9
	v_ashrrev_i32_e32 v4, 31, v2
	v_mov_b32_e32 v5, s9
	v_add_co_u32_e32 v2, vcc, s8, v2
	v_addc_co_u32_e32 v5, vcc, v5, v4, vcc
	v_lshlrev_b32_e32 v4, 2, v54
	v_add_co_u32_e32 v4, vcc, v2, v4
	v_addc_co_u32_e32 v5, vcc, 0, v5, vcc
	global_load_dwordx4 v[10:13], v[4:5], off
	v_mbcnt_lo_u32_b32 v2, -1, 0
	v_mbcnt_hi_u32_b32 v2, -1, v2
	v_and_b32_e32 v4, 0x60, v2
	v_xor_b32_e32 v5, 4, v2
	v_add_u32_e32 v6, 32, v4
	v_cmp_lt_i32_e32 vcc, v5, v6
	v_cndmask_b32_e32 v4, v2, v5, vcc
	v_lshlrev_b32_e32 v8, 2, v4
	v_xor_b32_e32 v16, 2, v2
	v_cmp_lt_i32_e32 vcc, v16, v6
	v_cndmask_b32_e32 v16, v2, v16, vcc
	v_lshlrev_b32_e32 v16, 2, v16
	v_xor_b32_e32 v17, 1, v2
	v_cmp_lt_i32_e32 vcc, v17, v6
	v_cndmask_b32_e32 v2, v2, v17, vcc
	v_lshlrev_b32_e32 v2, 2, v2
	s_mov_b32 s10, 0x42fe0000
	s_waitcnt vmcnt(0)
	v_mul_f32_e32 v9, s12, v10
	v_mul_f32_e32 v7, s12, v11
	;; [unrolled: 1-line block ×4, first 2 shown]
	v_max_f32_e64 v11, |v9|, |v7|
	v_max3_f32 v11, v11, |v5|, |v4|
	ds_bpermute_b32 v15, v8, v11
	v_fma_f32 v10, s12, v10, v7
	v_fmac_f32_e32 v10, s12, v12
	v_fmac_f32_e32 v10, s12, v13
	s_waitcnt lgkmcnt(0)
	v_max_f32_e32 v15, v15, v15
	v_max_f32_e32 v11, v11, v15
	ds_bpermute_b32 v15, v16, v11
	s_waitcnt lgkmcnt(0)
	v_max_f32_e32 v6, v15, v15
	v_max_f32_e32 v6, v11, v6
	ds_bpermute_b32 v11, v2, v6
	s_waitcnt lgkmcnt(0)
	v_max_f32_e32 v11, v11, v11
	v_max_f32_e32 v11, v6, v11
	v_div_scale_f32 v6, s[8:9], s10, s10, v11
	v_div_scale_f32 v15, vcc, v11, s10, v11
	v_rcp_f32_e32 v17, v6
	v_fma_f32 v12, -v6, v17, 1.0
	v_fmac_f32_e32 v17, v12, v17
	v_mul_f32_e32 v12, v15, v17
	v_fma_f32 v13, -v6, v12, v15
	v_fmac_f32_e32 v12, v13, v17
	v_fma_f32 v6, -v6, v12, v15
	v_div_fmas_f32 v12, v6, v17, v12
	ds_bpermute_b32 v6, v8, v10
	s_waitcnt lgkmcnt(0)
	v_add_f32_e32 v6, v10, v6
	ds_bpermute_b32 v8, v16, v6
	v_mov_b32_e32 v10, 0
	s_waitcnt lgkmcnt(0)
	v_add_f32_e32 v6, v6, v8
	ds_bpermute_b32 v8, v2, v6
	v_div_fixup_f32 v2, v12, s10, v11
	v_cmp_neq_f32_e32 vcc, 0, v2
	s_and_saveexec_b64 s[16:17], vcc
	s_cbranch_execz .LBB22_10
; %bb.9:
	v_div_scale_f32 v10, s[8:9], v2, v2, v9
	v_div_scale_f32 v13, vcc, v9, v2, v9
	v_div_scale_f32 v11, s[8:9], v2, v2, v7
	v_div_scale_f32 v12, s[8:9], v2, v2, v5
	;; [unrolled: 1-line block ×5, first 2 shown]
	s_brev_b32 s25, -2
	v_rcp_f32_e32 v17, v10
	v_rcp_f32_e32 v19, v11
	v_fma_f32 v21, -v10, v17, 1.0
	v_fmac_f32_e32 v17, v21, v17
	v_mul_f32_e32 v21, v13, v17
	v_fma_f32 v22, -v10, v21, v13
	v_fmac_f32_e32 v21, v22, v17
	v_fma_f32 v10, -v10, v21, v13
	v_div_fmas_f32 v10, v10, v17, v21
	v_div_scale_f32 v13, s[12:13], v4, v2, v4
	v_fma_f32 v17, -v11, v19, 1.0
	v_fmac_f32_e32 v19, v17, v19
	v_mul_f32_e32 v17, v15, v19
	v_fma_f32 v22, -v11, v17, v15
	v_fmac_f32_e32 v17, v22, v19
	v_rcp_f32_e32 v20, v12
	v_fma_f32 v11, -v11, v17, v15
	s_mov_b64 vcc, s[8:9]
	v_div_fmas_f32 v11, v11, v19, v17
	v_fma_f32 v21, -v12, v20, 1.0
	v_fmac_f32_e32 v20, v21, v20
	v_mul_f32_e32 v21, v16, v20
	v_fma_f32 v23, -v12, v21, v16
	v_div_fixup_f32 v9, v10, v2, v9
	v_trunc_f32_e32 v10, v9
	v_sub_f32_e32 v15, v9, v10
	v_cmp_ge_f32_e64 s[8:9], |v15|, 0.5
	v_cndmask_b32_e64 v15, 0, 1.0, s[8:9]
	v_bfi_b32 v9, s25, v15, v9
	v_add_f32_e32 v9, v10, v9
	v_rcp_f32_e32 v10, v18
	v_fmac_f32_e32 v21, v23, v20
	v_fma_f32 v12, -v12, v21, v16
	s_mov_b64 vcc, s[10:11]
	v_fma_f32 v15, -v18, v10, 1.0
	v_fmac_f32_e32 v10, v15, v10
	v_div_fmas_f32 v12, v12, v20, v21
	v_mul_f32_e32 v15, v13, v10
	v_fma_f32 v16, -v18, v15, v13
	v_fmac_f32_e32 v15, v16, v10
	v_fma_f32 v13, -v18, v15, v13
	s_mov_b64 vcc, s[12:13]
	v_div_fmas_f32 v10, v13, v10, v15
	v_div_fixup_f32 v7, v11, v2, v7
	v_trunc_f32_e32 v11, v7
	v_sub_f32_e32 v13, v7, v11
	v_cmp_ge_f32_e64 s[8:9], |v13|, 0.5
	v_cndmask_b32_e64 v13, 0, 1.0, s[8:9]
	v_bfi_b32 v7, s25, v13, v7
	v_add_f32_e32 v7, v11, v7
	v_cvt_i32_f32_e32 v9, v9
	v_cvt_i32_f32_e32 v7, v7
	v_div_fixup_f32 v5, v12, v2, v5
	v_trunc_f32_e32 v11, v5
	v_sub_f32_e32 v12, v5, v11
	v_cmp_ge_f32_e64 s[8:9], |v12|, 0.5
	v_cndmask_b32_e64 v12, 0, 1.0, s[8:9]
	v_bfi_b32 v5, s25, v12, v5
	v_div_fixup_f32 v4, v10, v2, v4
	v_trunc_f32_e32 v10, v4
	v_add_f32_e32 v5, v11, v5
	v_sub_f32_e32 v11, v4, v10
	v_cmp_ge_f32_e64 s[8:9], |v11|, 0.5
	v_cndmask_b32_e64 v11, 0, 1.0, s[8:9]
	v_cvt_i32_f32_e32 v5, v5
	v_bfi_b32 v4, s25, v11, v4
	v_add_f32_e32 v4, v10, v4
	v_cvt_i32_f32_e32 v4, v4
	v_and_b32_e32 v5, 0xff, v5
	v_lshlrev_b32_e32 v5, 16, v5
	v_lshl_or_b32 v4, v4, 24, v5
	v_mov_b32_e32 v5, 8
	v_lshlrev_b32_sdwa v5, v5, v7 dst_sel:DWORD dst_unused:UNUSED_PAD src0_sel:DWORD src1_sel:BYTE_0
	v_and_b32_e32 v7, 0xff, v9
	v_or3_b32 v10, v4, v5, v7
.LBB22_10:
	s_or_b64 exec, exec, s[16:17]
	v_and_b32_e32 v4, 7, v0
	v_cmp_eq_u32_e32 vcc, 0, v4
	ds_write_b32 v3, v10
	s_and_saveexec_b64 s[8:9], vcc
	s_cbranch_execz .LBB22_12
; %bb.11:
	s_waitcnt lgkmcnt(1)
	v_add_f32_e32 v3, v6, v8
	v_add_u32_e32 v4, v52, v0
	ds_write_b64 v4, v[2:3] offset:128
.LBB22_12:
	s_or_b64 exec, exec, s[8:9]
.LBB22_13:
	s_or_b64 exec, exec, s[14:15]
	v_and_b32_e32 v18, 3, v0
	v_lshlrev_b32_e32 v2, 2, v18
	s_waitcnt vmcnt(0) lgkmcnt(0)
	s_barrier
	ds_read2_b32 v[34:35], v2 offset1:4
	ds_read2_b32 v[36:37], v2 offset0:8 offset1:12
	ds_read2_b32 v[38:39], v2 offset0:16 offset1:20
	;; [unrolled: 1-line block ×7, first 2 shown]
	ds_read_b128 v[2:5], v14 offset:128
	ds_read_b128 v[6:9], v14 offset:144
	;; [unrolled: 1-line block ×4, first 2 shown]
	s_cmp_eq_u64 s[46:47], 0
	s_mov_b32 s25, s54
	s_waitcnt lgkmcnt(0)
	s_barrier
	s_cbranch_scc1 .LBB22_15
; %bb.14:
	s_load_dword s8, s[4:5], 0xd0
	s_mov_b32 s9, 0
	s_waitcnt lgkmcnt(0)
	s_mul_i32 s8, s8, s33
	s_add_i32 s8, s8, s6
	s_lshl_b64 s[8:9], s[8:9], 2
	s_add_u32 s8, s46, s8
	s_addc_u32 s9, s47, s9
	s_load_dword s25, s[8:9], 0x0
.LBB22_15:
	v_lshlrev_b32_e32 v22, 5, v1
	v_add_u32_e32 v53, v22, v0
	s_lshl_b32 s28, s7, 7
	s_mov_b32 s29, 0
	s_waitcnt lgkmcnt(0)
	s_cmp_ge_i32 s28, s25
	v_mbcnt_lo_u32_b32 v57, -1, 0
	v_lshlrev_b32_e32 v55, 1, v53
	s_cbranch_scc1 .LBB22_67
; %bb.16:
	s_sub_i32 s6, 0, s34
	s_sub_i32 s8, 0, s30
	s_mul_i32 s6, s6, s19
	s_mul_i32 s8, s8, s18
	s_mul_hi_u32 s6, s19, s6
	s_mul_hi_u32 s8, s18, s8
	s_abs_i32 s10, s24
	s_add_i32 s19, s19, s6
	s_abs_i32 s6, s33
	s_add_i32 s18, s18, s8
	s_mul_hi_u32 s11, s10, s19
	s_mul_hi_u32 s12, s6, s18
	s_load_dwordx2 s[52:53], s[4:5], 0x8c
	s_load_dwordx4 s[16:19], s[4:5], 0x98
	s_ashr_i32 s13, s24, 31
	s_ashr_i32 s14, s35, 31
	;; [unrolled: 1-line block ×3, first 2 shown]
	s_xor_b32 s13, s13, s14
	s_waitcnt lgkmcnt(0)
	s_mul_hi_u32 s15, s16, s33
	s_mul_i32 s35, s16, s61
	s_mul_i32 s14, s11, s34
	s_add_i32 s55, s15, s35
	s_mul_i32 s15, s17, s33
	s_sub_i32 s10, s10, s14
	s_add_i32 s55, s55, s15
	s_add_i32 s14, s11, 1
	s_sub_i32 s15, s10, s34
	s_cmp_ge_u32 s10, s34
	s_cselect_b32 s11, s14, s11
	s_cselect_b32 s10, s15, s10
	s_add_i32 s14, s11, 1
	s_cmp_ge_u32 s10, s34
	s_cselect_b32 s10, s14, s11
	s_xor_b32 s10, s10, s13
	s_sub_i32 s56, s10, s13
	s_mul_i32 s12, s12, s30
	s_mul_i32 s59, s56, s53
	;; [unrolled: 1-line block ×3, first 2 shown]
	s_sub_i32 s6, s6, s12
	s_ashr_i32 s60, s59, 31
	s_ashr_i32 s58, s56, 31
	s_sub_i32 s10, s6, s30
	s_cmp_ge_u32 s6, s30
	s_cselect_b32 s6, s10, s6
	s_sub_i32 s10, s6, s30
	s_load_dwordx2 s[8:9], s[4:5], 0xc8
	s_cmp_ge_u32 s6, s30
	s_cselect_b32 s6, s10, s6
	s_xor_b32 s6, s6, s61
	s_sub_i32 s6, s6, s61
	s_ashr_i32 s10, s6, 31
	s_mul_i32 s57, s16, s33
	s_load_dword s12, s[4:5], 0xd4
	s_load_dwordx2 s[16:17], s[4:5], 0xa8
	s_waitcnt lgkmcnt(0)
	s_mul_i32 s10, s8, s10
	s_mul_hi_u32 s11, s8, s6
	s_add_i32 s10, s11, s10
	s_mul_i32 s9, s9, s6
	s_mul_i32 s64, s8, s6
	;; [unrolled: 1-line block ×3, first 2 shown]
	s_add_i32 s19, s10, s9
	s_ashr_i32 s53, s6, 31
	s_cmp_lg_u64 s[42:43], 0
	v_and_b32_e32 v19, 0x7c, v0
	v_mbcnt_hi_u32_b32 v28, -1, v57
	s_cselect_b64 s[10:11], -1, 0
	s_lshl_b32 s30, s12, 7
	v_add_u32_e32 v23, v22, v19
	v_and_b32_e32 v19, 0x7c, v28
	s_cmp_lt_i32 s26, s22
	v_add_u32_e32 v19, 4, v19
	v_xor_b32_e32 v20, 2, v28
	s_cselect_b64 s[12:13], -1, 0
	v_cmp_lt_i32_e32 vcc, v20, v19
	s_and_b64 s[34:35], s[10:11], s[12:13]
	s_or_b32 s12, s26, 1
	v_cndmask_b32_e32 v24, v28, v20, vcc
	v_xor_b32_e32 v20, 1, v28
	s_cmp_lt_i32 s12, s22
	v_cmp_lt_i32_e32 vcc, v20, v19
	v_and_b32_e32 v19, 0x60, v28
	s_cselect_b64 s[12:13], -1, 0
	v_add_u32_e32 v29, 32, v19
	v_cmp_eq_u32_e64 s[8:9], 0, v18
	s_and_b64 s[36:37], s[10:11], s[12:13]
	v_cmp_eq_u32_e64 s[10:11], 1, v18
	v_cmp_eq_u32_e64 s[12:13], 2, v18
	v_cmp_eq_u32_e64 s[14:15], 3, v18
	v_xor_b32_e32 v18, 4, v28
	v_cndmask_b32_e32 v25, v28, v20, vcc
	v_cmp_lt_i32_e32 vcc, v18, v29
	v_cndmask_b32_e32 v26, v28, v18, vcc
	v_xor_b32_e32 v18, 8, v28
	v_cmp_lt_i32_e32 vcc, v18, v29
	v_cndmask_b32_e32 v27, v28, v18, vcc
	v_xor_b32_e32 v18, 16, v28
	v_mul_lo_u32 v51, v23, s52
	v_cmp_lt_i32_e32 vcc, v18, v29
	s_ashr_i32 s46, s54, 31
	v_add_u32_e32 v19, s54, v23
	v_cndmask_b32_e32 v28, v28, v18, vcc
	v_add_co_u32_e32 v31, vcc, s54, v23
	s_add_u32 s54, s38, s59
	s_addc_u32 s65, s39, s60
	s_lshl_b64 s[62:63], s[28:29], 1
	s_mov_b32 s31, s29
	v_mov_b32_e32 v18, s46
	s_add_u32 s29, s42, s62
	v_and_b32_e32 v21, 12, v54
	v_add_u32_e32 v74, s52, v51
	v_addc_co_u32_e32 v32, vcc, 0, v18, vcc
	s_addc_u32 s46, s43, s63
	v_add_u32_e32 v68, s52, v74
	v_mov_b32_e32 v18, s55
	v_add_co_u32_e32 v21, vcc, s57, v21
	s_add_u32 s29, s29, s64
	v_add_u32_e32 v62, s52, v68
	v_addc_co_u32_e32 v76, vcc, 0, v18, vcc
	s_addc_u32 s66, s46, s19
	s_lshl_b64 s[46:47], s[30:31], 1
	v_ashrrev_i32_e32 v63, 31, v62
	v_add_co_u32_e32 v18, vcc, v21, v62
	s_add_u32 s31, s64, s62
	v_ashrrev_i32_e32 v20, 31, v19
	v_addc_co_u32_e32 v59, vcc, v76, v63, vcc
	s_addc_u32 s62, s19, s63
	v_mov_b32_e32 v60, s65
	v_add_co_u32_e32 v58, vcc, s54, v18
	v_lshlrev_b64 v[18:19], 1, v[19:20]
	s_add_u32 s19, s42, s31
	v_addc_co_u32_e32 v59, vcc, v60, v59, vcc
	s_addc_u32 s42, s43, s62
	v_mov_b32_e32 v20, s66
	v_add_co_u32_e32 v60, vcc, s29, v18
	s_add_u32 s31, s54, s57
	v_addc_co_u32_e32 v61, vcc, v20, v19, vcc
	s_addc_u32 s43, s65, s55
	v_mov_b32_e32 v18, s43
	v_add_co_u32_e32 v62, vcc, s31, v62
	v_addc_co_u32_e32 v63, vcc, v18, v63, vcc
	v_ashrrev_i32_e32 v69, 31, v68
	v_add_co_u32_e32 v18, vcc, v21, v68
	v_addc_co_u32_e32 v19, vcc, v76, v69, vcc
	v_mov_b32_e32 v20, s65
	v_add_co_u32_e32 v64, vcc, s54, v18
	v_addc_co_u32_e32 v65, vcc, v20, v19, vcc
	v_lshlrev_b64 v[18:19], 1, v[31:32]
	v_mov_b32_e32 v20, s66
	v_add_co_u32_e32 v66, vcc, s29, v18
	v_addc_co_u32_e32 v67, vcc, v20, v19, vcc
	v_mov_b32_e32 v18, s43
	v_add_co_u32_e32 v68, vcc, s31, v68
	v_addc_co_u32_e32 v69, vcc, v18, v69, vcc
	v_ashrrev_i32_e32 v75, 31, v74
	v_add_co_u32_e32 v18, vcc, v21, v74
	v_addc_co_u32_e32 v19, vcc, v76, v75, vcc
	v_bfe_u32 v33, v0, 3, 27
	v_mov_b32_e32 v20, s65
	v_add_co_u32_e32 v70, vcc, s54, v18
	v_addc_co_u32_e32 v71, vcc, v20, v19, vcc
	v_mul_hi_u32_u24_e32 v19, 34, v33
	v_mul_u32_u24_e32 v18, 34, v33
	v_mov_b32_e32 v20, s33
	v_mul_lo_u32 v78, v22, s18
	v_mad_u64_u32 v[18:19], s[62:63], s16, v20, v[18:19]
	s_mul_i32 s17, s17, s33
	s_mul_i32 s16, s16, s61
	s_add_i32 s16, s16, s17
	v_ashrrev_i32_e32 v79, 31, v78
	v_add_u32_e32 v19, s16, v19
	v_add_co_u32_e32 v20, vcc, v18, v78
	s_add_u32 s16, s40, s56
	v_addc_co_u32_e32 v31, vcc, v19, v79, vcc
	s_addc_u32 s17, s41, s58
	v_mov_b32_e32 v32, s17
	v_add_co_u32_e32 v72, vcc, s16, v20
	v_addc_co_u32_e32 v73, vcc, v32, v31, vcc
	v_mov_b32_e32 v20, s43
	v_add_co_u32_e32 v74, vcc, s31, v74
	v_addc_co_u32_e32 v75, vcc, v20, v75, vcc
	v_mov_b32_e32 v20, s60
	v_add_co_u32_e32 v21, vcc, s59, v21
	v_addc_co_u32_e32 v20, vcc, v76, v20, vcc
	v_ashrrev_i32_e32 v82, 31, v51
	v_add_co_u32_e32 v21, vcc, v21, v51
	v_addc_co_u32_e32 v20, vcc, v20, v82, vcc
	v_mov_b32_e32 v31, s39
	v_add_co_u32_e32 v76, vcc, s38, v21
	v_and_b32_e32 v50, 28, v54
	v_addc_co_u32_e32 v77, vcc, v31, v20, vcc
	v_add_co_u32_e32 v20, vcc, v18, v50
	v_addc_co_u32_e32 v21, vcc, 0, v19, vcc
	v_add_co_u32_e32 v31, vcc, v20, v78
	v_addc_co_u32_e32 v32, vcc, v21, v79, vcc
	v_add_u32_e32 v29, s18, v78
	v_mov_b32_e32 v33, s17
	v_add_co_u32_e32 v78, vcc, s16, v31
	v_addc_co_u32_e32 v79, vcc, v33, v32, vcc
	v_mov_b32_e32 v31, s58
	v_add_co_u32_e32 v33, vcc, s56, v18
	v_addc_co_u32_e32 v50, vcc, v19, v31, vcc
	v_ashrrev_i32_e32 v30, 31, v29
	v_add_co_u32_e32 v18, vcc, v33, v29
	s_add_u32 s16, s57, s59
	v_addc_co_u32_e32 v19, vcc, v50, v30, vcc
	s_addc_u32 s17, s55, s60
	v_mov_b32_e32 v31, s41
	v_add_co_u32_e32 v80, vcc, s40, v18
	s_add_u32 s16, s38, s16
	v_addc_co_u32_e32 v81, vcc, v31, v19, vcc
	s_addc_u32 s17, s39, s17
	v_add_u32_e32 v19, 31, v22
	v_mov_b32_e32 v18, s17
	v_add_co_u32_e32 v31, vcc, s16, v51
	v_mul_lo_u32 v19, s18, v19
	v_addc_co_u32_e32 v32, vcc, v18, v82, vcc
	v_mov_b32_e32 v18, s58
	v_add_co_u32_e32 v51, vcc, s56, v20
	v_addc_co_u32_e32 v100, vcc, v21, v18, vcc
	v_ashrrev_i32_e32 v18, 31, v19
	v_add_co_u32_e32 v20, vcc, v51, v19
	v_addc_co_u32_e32 v21, vcc, v100, v18, vcc
	v_mov_b32_e32 v83, s41
	v_add_co_u32_e32 v82, vcc, s40, v20
	v_addc_co_u32_e32 v83, vcc, v83, v21, vcc
	v_add_u32_e32 v21, 30, v22
	v_add_co_u32_e32 v19, vcc, v33, v19
	v_mul_lo_u32 v21, s18, v21
	v_addc_co_u32_e32 v18, vcc, v50, v18, vcc
	v_mov_b32_e32 v20, s41
	v_add_co_u32_e32 v84, vcc, s40, v19
	v_addc_co_u32_e32 v85, vcc, v20, v18, vcc
	v_ashrrev_i32_e32 v18, 31, v21
	v_add_co_u32_e32 v19, vcc, v51, v21
	v_addc_co_u32_e32 v20, vcc, v100, v18, vcc
	v_mov_b32_e32 v87, s41
	v_add_co_u32_e32 v86, vcc, s40, v19
	v_addc_co_u32_e32 v87, vcc, v87, v20, vcc
	v_add_co_u32_e32 v19, vcc, v33, v21
	v_add_u32_e32 v21, 29, v22
	v_mul_lo_u32 v21, s18, v21
	v_addc_co_u32_e32 v18, vcc, v50, v18, vcc
	v_mov_b32_e32 v20, s41
	v_add_co_u32_e32 v88, vcc, s40, v19
	v_addc_co_u32_e32 v89, vcc, v20, v18, vcc
	v_ashrrev_i32_e32 v18, 31, v21
	v_add_co_u32_e32 v19, vcc, v51, v21
	v_addc_co_u32_e32 v20, vcc, v100, v18, vcc
	v_mov_b32_e32 v91, s41
	v_add_co_u32_e32 v90, vcc, s40, v19
	v_addc_co_u32_e32 v91, vcc, v91, v20, vcc
	v_add_co_u32_e32 v19, vcc, v33, v21
	v_add_u32_e32 v21, 28, v22
	;; [unrolled: 13-line block ×9, first 2 shown]
	v_mul_lo_u32 v21, s18, v21
	v_addc_co_u32_e32 v18, vcc, v50, v18, vcc
	v_mov_b32_e32 v20, s41
	v_add_co_u32_e32 v122, vcc, s40, v19
	v_addc_co_u32_e32 v123, vcc, v20, v18, vcc
	v_ashrrev_i32_e32 v18, 31, v21
	v_add_co_u32_e32 v19, vcc, v51, v21
	v_addc_co_u32_e32 v20, vcc, v100, v18, vcc
	v_add_co_u32_e32 v124, vcc, s40, v19
	v_addc_co_u32_e32 v125, vcc, v117, v20, vcc
	v_add_co_u32_e32 v19, vcc, v33, v21
	v_add_u32_e32 v21, 20, v22
	v_mul_lo_u32 v21, s18, v21
	v_addc_co_u32_e32 v18, vcc, v50, v18, vcc
	v_mov_b32_e32 v20, s41
	v_add_co_u32_e32 v126, vcc, s40, v19
	v_addc_co_u32_e32 v127, vcc, v20, v18, vcc
	v_ashrrev_i32_e32 v18, 31, v21
	v_add_co_u32_e32 v19, vcc, v51, v21
	v_addc_co_u32_e32 v20, vcc, v100, v18, vcc
	v_add_co_u32_e32 v128, vcc, s40, v19
	v_addc_co_u32_e32 v129, vcc, v117, v20, vcc
	v_add_co_u32_e32 v19, vcc, v33, v21
	v_add_u32_e32 v21, 19, v22
	v_mul_lo_u32 v21, s18, v21
	v_addc_co_u32_e32 v18, vcc, v50, v18, vcc
	v_mov_b32_e32 v20, s41
	v_add_co_u32_e32 v130, vcc, s40, v19
	v_addc_co_u32_e32 v131, vcc, v20, v18, vcc
	v_ashrrev_i32_e32 v18, 31, v21
	v_add_co_u32_e32 v19, vcc, v51, v21
	v_addc_co_u32_e32 v20, vcc, v100, v18, vcc
	v_add_co_u32_e32 v132, vcc, s40, v19
	v_addc_co_u32_e32 v133, vcc, v117, v20, vcc
	;; [unrolled: 2-line block ×3, first 2 shown]
	v_add_u32_e32 v117, s18, v29
	v_mov_b32_e32 v20, s41
	v_add_co_u32_e32 v134, vcc, s40, v19
	v_add_u32_e32 v198, s18, v117
	v_addc_co_u32_e32 v135, vcc, v20, v18, vcc
	v_add_u32_e32 v18, s18, v198
	v_add_u32_e32 v19, s18, v18
	;; [unrolled: 1-line block ×15, first 2 shown]
	v_ashrrev_i32_e32 v139, 31, v138
	v_add_co_u32_e32 v136, vcc, v51, v138
	v_addc_co_u32_e32 v137, vcc, v100, v139, vcc
	v_mov_b32_e32 v140, s41
	v_add_co_u32_e32 v136, vcc, s40, v136
	v_addc_co_u32_e32 v137, vcc, v140, v137, vcc
	v_add_co_u32_e32 v138, vcc, v33, v138
	v_addc_co_u32_e32 v139, vcc, v50, v139, vcc
	v_add_co_u32_e32 v138, vcc, s40, v138
	v_addc_co_u32_e32 v139, vcc, v140, v139, vcc
	v_ashrrev_i32_e32 v143, 31, v142
	v_add_co_u32_e32 v140, vcc, v51, v142
	v_addc_co_u32_e32 v141, vcc, v100, v143, vcc
	v_mov_b32_e32 v144, s41
	v_add_co_u32_e32 v140, vcc, s40, v140
	v_addc_co_u32_e32 v141, vcc, v144, v141, vcc
	v_add_co_u32_e32 v142, vcc, v33, v142
	v_addc_co_u32_e32 v143, vcc, v50, v143, vcc
	v_add_co_u32_e32 v142, vcc, s40, v142
	v_addc_co_u32_e32 v143, vcc, v144, v143, vcc
	;; [unrolled: 10-line block ×11, first 2 shown]
	v_ashrrev_i32_e32 v182, 31, v21
	v_add_co_u32_e32 v180, vcc, v51, v21
	v_addc_co_u32_e32 v181, vcc, v100, v182, vcc
	v_mov_b32_e32 v183, s41
	v_add_co_u32_e32 v180, vcc, s40, v180
	v_addc_co_u32_e32 v181, vcc, v183, v181, vcc
	v_add_co_u32_e32 v21, vcc, v33, v21
	v_addc_co_u32_e32 v183, vcc, v50, v182, vcc
	v_mov_b32_e32 v184, s41
	v_add_co_u32_e32 v182, vcc, s40, v21
	v_addc_co_u32_e32 v183, vcc, v184, v183, vcc
	v_ashrrev_i32_e32 v21, 31, v20
	v_add_co_u32_e32 v184, vcc, v51, v20
	v_addc_co_u32_e32 v185, vcc, v100, v21, vcc
	v_mov_b32_e32 v186, s41
	v_add_co_u32_e32 v184, vcc, s40, v184
	v_addc_co_u32_e32 v185, vcc, v186, v185, vcc
	v_add_co_u32_e32 v20, vcc, v33, v20
	v_addc_co_u32_e32 v21, vcc, v50, v21, vcc
	v_mov_b32_e32 v187, s41
	v_add_co_u32_e32 v186, vcc, s40, v20
	v_addc_co_u32_e32 v187, vcc, v187, v21, vcc
	;; [unrolled: 11-line block ×4, first 2 shown]
	buffer_load_dword v21, off, s[0:3], 0
	buffer_load_dword v20, off, s[0:3], 0 offset:4
	buffer_load_dword v18, off, s[0:3], 0 offset:8
	;; [unrolled: 1-line block ×3, first 2 shown]
	v_ashrrev_i32_e32 v199, 31, v198
	v_add_co_u32_e32 v196, vcc, v51, v198
	v_addc_co_u32_e32 v197, vcc, v100, v199, vcc
	v_mov_b32_e32 v200, s41
	v_add_co_u32_e32 v196, vcc, s40, v196
	v_addc_co_u32_e32 v197, vcc, v200, v197, vcc
	v_add_co_u32_e32 v198, vcc, v33, v198
	v_addc_co_u32_e32 v199, vcc, v50, v199, vcc
	;; [unrolled: 2-line block ×3, first 2 shown]
	v_ashrrev_i32_e32 v202, 31, v117
	v_add_co_u32_e32 v200, vcc, v51, v117
	v_addc_co_u32_e32 v201, vcc, v100, v202, vcc
	v_mov_b32_e32 v203, s41
	v_add_co_u32_e32 v200, vcc, s40, v200
	v_addc_co_u32_e32 v201, vcc, v203, v201, vcc
	v_add_co_u32_e32 v33, vcc, v33, v117
	v_addc_co_u32_e32 v50, vcc, v50, v202, vcc
	v_mov_b32_e32 v117, s41
	v_add_co_u32_e32 v202, vcc, s40, v33
	v_addc_co_u32_e32 v203, vcc, v117, v50, vcc
	v_add_co_u32_e32 v29, vcc, v51, v29
	v_addc_co_u32_e32 v30, vcc, v100, v30, vcc
	v_mov_b32_e32 v33, s41
	v_add_co_u32_e32 v204, vcc, s40, v29
	v_addc_co_u32_e32 v205, vcc, v33, v30, vcc
	v_lshlrev_b32_e32 v211, 1, v22
	v_lshlrev_b32_e32 v22, 1, v23
	v_mov_b32_e32 v23, s42
	v_add_co_u32_e32 v212, vcc, s19, v22
	v_addc_co_u32_e32 v213, vcc, 0, v23, vcc
	v_add_co_u32_e32 v214, vcc, 54, v31
	s_mul_i32 s29, s18, s28
	s_mul_i32 s31, s52, s28
	v_lshlrev_b32_e32 v206, 2, v24
	v_lshlrev_b32_e32 v207, 2, v25
	s_mul_i32 s40, s30, s52
	s_mul_i32 s41, s30, s18
	v_lshlrev_b32_e32 v208, 2, v26
	v_lshlrev_b32_e32 v209, 2, v27
	;; [unrolled: 1-line block ×3, first 2 shown]
	v_addc_co_u32_e32 v215, vcc, 0, v32, vcc
	s_mov_b32 s42, 0x3f200000
	s_mov_b32 s43, 0x3fb8aa3b
	;; [unrolled: 1-line block ×4, first 2 shown]
	s_brev_b32 s55, -2
	s_mov_b32 s56, 0x10001
	v_mov_b32_e32 v100, 0
	v_mov_b32_e32 v23, 0xfeffffff
	;; [unrolled: 1-line block ×10, first 2 shown]
.LBB22_17:                              ; =>This Inner Loop Header: Depth=1
	v_add_co_u32_e32 v24, vcc, s31, v76
	v_addc_co_u32_e32 v25, vcc, 0, v77, vcc
	global_load_dword v26, v[24:25], off offset:2
	global_load_dword v27, v[24:25], off offset:20
	;; [unrolled: 1-line block ×4, first 2 shown]
	v_add_co_u32_e32 v24, vcc, s31, v214
	v_addc_co_u32_e32 v25, vcc, 0, v215, vcc
	global_load_ushort v32, v[24:25], off offset:-54
	global_load_ushort v33, v[24:25], off offset:-36
	;; [unrolled: 1-line block ×3, first 2 shown]
	global_load_ushort v31, v[24:25], off
	s_waitcnt vmcnt(7)
	v_and_b32_e32 v51, 0xf0f0f0f, v26
	v_lshrrev_b32_e32 v24, 4, v26
	v_and_b32_e32 v222, 0xf0f0f0f, v24
	v_dot4_i32_i8 v24, v51, v34, 0
	s_waitcnt vmcnt(6)
	v_and_b32_e32 v29, 0xf0f0f0f, v27
	v_lshrrev_b32_e32 v26, 4, v27
	s_waitcnt vmcnt(4)
	v_lshrrev_b32_e32 v223, 4, v30
	v_dot4_i32_i8 v226, v222, v35, 0
	v_cvt_f32_i32_e32 v24, v24
	v_and_b32_e32 v25, 0xf0f0f0f, v30
	v_and_b32_e32 v30, 0xf0f0f0f, v26
	;; [unrolled: 1-line block ×3, first 2 shown]
	v_dot4_i32_i8 v223, v29, v36, 0
	v_cvt_f32_i32_e32 v226, v226
	v_and_b32_e32 v27, 0xf0f0f0f, v28
	v_lshrrev_b32_e32 v28, 4, v28
	v_dot4_i32_i8 v227, v30, v37, 0
	v_cvt_f32_i32_e32 v223, v223
	v_and_b32_e32 v28, 0xf0f0f0f, v28
	v_dot4_i32_i8 v224, v27, v38, 0
	v_cvt_f32_i32_e32 v227, v227
	v_dot4_i32_i8 v228, v28, v39, 0
	v_cvt_f32_i32_e32 v224, v224
	v_fma_f32 v24, v2, v24, -v3
	v_dot4_i32_i8 v225, v25, v40, 0
	v_cvt_f32_i32_e32 v228, v228
	v_fma_f32 v226, v2, v226, -v3
	s_waitcnt vmcnt(3)
	v_fma_mix_f32 v24, v24, v32, 0 op_sel_hi:[0,1,0]
	v_dot4_i32_i8 v229, v26, v41, 0
	v_cvt_f32_i32_e32 v225, v225
	v_fma_f32 v223, v4, v223, -v5
	v_fma_mix_f32 v24, v226, v32, v24 op_sel_hi:[0,1,0]
	v_cvt_f32_i32_e32 v229, v229
	v_fma_f32 v227, v4, v227, -v5
	s_waitcnt vmcnt(2)
	v_fma_mix_f32 v24, v223, v33, v24 op_sel_hi:[0,1,0]
	v_fma_f32 v224, v6, v224, -v7
	v_fma_mix_f32 v24, v227, v33, v24 op_sel_hi:[0,1,0]
	v_fma_f32 v228, v6, v228, -v7
	s_waitcnt vmcnt(1)
	v_fma_mix_f32 v24, v224, v50, v24 op_sel_hi:[0,1,0]
	v_fma_mix_f32 v24, v228, v50, v24 op_sel_hi:[0,1,0]
	v_fma_f32 v223, v8, v225, -v9
	v_fma_f32 v229, v8, v229, -v9
	s_waitcnt vmcnt(0)
	v_fma_mix_f32 v24, v223, v31, v24 op_sel_hi:[0,1,0]
	v_fma_mix_f32 v24, v229, v31, v24 op_sel_hi:[0,1,0]
	ds_bpermute_b32 v223, v206, v24
	s_waitcnt lgkmcnt(0)
	v_add_f32_e32 v24, v24, v223
	ds_bpermute_b32 v223, v207, v24
	s_waitcnt lgkmcnt(0)
	v_add_f32_e32 v24, v24, v223
	v_cmp_nlt_f32_e64 s[16:17], |v24|, s42
                                        ; implicit-def: $vgpr223
	s_and_saveexec_b64 s[18:19], s[16:17]
	s_xor_b64 s[16:17], exec, s[18:19]
	s_cbranch_execz .LBB22_19
; %bb.18:                               ;   in Loop: Header=BB22_17 Depth=1
	v_add_f32_e64 v223, |v24|, |v24|
	v_mul_f32_e32 v224, 0x3fb8aa3b, v223
	v_rndne_f32_e32 v225, v224
	v_sub_f32_e32 v226, v224, v225
	v_fma_f32 v224, v223, s43, -v224
	v_fmac_f32_e32 v224, 0x32a5705f, v223
	v_add_f32_e32 v224, v226, v224
	v_cvt_i32_f32_e32 v225, v225
	v_exp_f32_e32 v224, v224
	v_cmp_ngt_f32_e32 vcc, s52, v223
	v_ldexp_f32 v224, v224, v225
	v_cndmask_b32_e32 v224, 0, v224, vcc
	v_cmp_nlt_f32_e32 vcc, s54, v223
	v_cndmask_b32_e32 v223, v219, v224, vcc
	v_add_f32_e32 v223, 1.0, v223
	v_rcp_f32_e32 v223, v223
	v_fma_f32 v223, v223, -2.0, 1.0
.LBB22_19:                              ;   in Loop: Header=BB22_17 Depth=1
	s_andn2_saveexec_b64 s[16:17], s[16:17]
; %bb.20:                               ;   in Loop: Header=BB22_17 Depth=1
	v_mul_f32_e32 v223, v24, v24
	v_mov_b32_e32 v224, 0x3ca908c9
	v_fmac_f32_e32 v224, 0xbbbac73d, v223
	v_fma_f32 v224, v223, v224, v216
	v_fma_f32 v224, v223, v224, v217
	;; [unrolled: 1-line block ×3, first 2 shown]
	v_mul_f32_e64 v224, |v24|, v224
	v_fma_f32 v223, v223, v224, |v24|
; %bb.21:                               ;   in Loop: Header=BB22_17 Depth=1
	s_or_b64 exec, exec, s[16:17]
	v_bfi_b32 v24, s55, v223, v24
	v_cndmask_b32_e64 v223, 0, 1, s[34:35]
	v_cmp_ne_u32_e64 s[16:17], 1, v223
	s_andn2_b64 vcc, exec, s[34:35]
	v_mul_f32_e32 v24, s27, v24
	s_cbranch_vccnz .LBB22_23
; %bb.22:                               ;   in Loop: Header=BB22_17 Depth=1
	v_mov_b32_e32 v224, s53
	v_add_co_u32_e32 v223, vcc, s6, v212
	v_addc_co_u32_e32 v224, vcc, v213, v224, vcc
	global_load_ushort v223, v[223:224], off
	s_waitcnt vmcnt(0)
	v_fma_mix_f32 v24, v56, v223, v24 op_sel_hi:[0,1,0]
.LBB22_23:                              ;   in Loop: Header=BB22_17 Depth=1
	v_dot4_i32_i8 v51, v51, v42, 0
	v_cvt_f32_i32_e32 v51, v51
	v_dot4_i32_i8 v222, v222, v43, 0
	v_cvt_f32_f16_e32 v32, v32
	v_cvt_f32_i32_e32 v222, v222
	v_dot4_i32_i8 v29, v29, v44, 0
	v_cvt_f32_i32_e32 v29, v29
	v_dot4_i32_i8 v30, v30, v45, 0
	v_cvt_f32_f16_e32 v33, v33
	v_cvt_f32_i32_e32 v30, v30
	v_dot4_i32_i8 v27, v27, v46, 0
	v_fma_f32 v51, v10, v51, -v11
	v_cvt_f32_i32_e32 v27, v27
	v_dot4_i32_i8 v28, v28, v47, 0
	v_cvt_f32_f16_e32 v50, v50
	v_fma_f32 v51, v51, v32, 0
	v_fma_f32 v222, v10, v222, -v11
	v_cvt_f32_i32_e32 v28, v28
	v_dot4_i32_i8 v25, v25, v48, 0
	v_fmac_f32_e32 v51, v222, v32
	v_fma_f32 v29, v12, v29, -v13
	v_cvt_f32_i32_e32 v25, v25
	v_dot4_i32_i8 v26, v26, v49, 0
	v_cvt_f32_f16_e32 v31, v31
	v_fmac_f32_e32 v51, v29, v33
	v_fma_f32 v29, v12, v30, -v13
	v_cvt_f32_i32_e32 v26, v26
	v_fmac_f32_e32 v51, v29, v33
	v_fma_f32 v27, v14, v27, -v15
	v_fmac_f32_e32 v51, v27, v50
	v_fma_f32 v27, v14, v28, -v15
	;; [unrolled: 2-line block ×4, first 2 shown]
	v_fmac_f32_e32 v51, v25, v31
	ds_bpermute_b32 v25, v206, v51
	s_waitcnt lgkmcnt(0)
	v_add_f32_e32 v25, v51, v25
	ds_bpermute_b32 v26, v207, v25
	s_waitcnt lgkmcnt(0)
	v_add_f32_e32 v25, v25, v26
	v_cmp_nlt_f32_e64 s[18:19], |v25|, s42
                                        ; implicit-def: $vgpr26
	s_and_saveexec_b64 s[38:39], s[18:19]
	s_xor_b64 s[18:19], exec, s[38:39]
	s_cbranch_execz .LBB22_25
; %bb.24:                               ;   in Loop: Header=BB22_17 Depth=1
	v_add_f32_e64 v26, |v25|, |v25|
	v_mul_f32_e32 v27, 0x3fb8aa3b, v26
	v_rndne_f32_e32 v28, v27
	v_sub_f32_e32 v29, v27, v28
	v_fma_f32 v27, v26, s43, -v27
	v_fmac_f32_e32 v27, 0x32a5705f, v26
	v_add_f32_e32 v27, v29, v27
	v_cvt_i32_f32_e32 v28, v28
	v_exp_f32_e32 v27, v27
	v_cmp_ngt_f32_e32 vcc, s52, v26
	v_ldexp_f32 v27, v27, v28
	v_cndmask_b32_e32 v27, 0, v27, vcc
	v_cmp_nlt_f32_e32 vcc, s54, v26
	v_cndmask_b32_e32 v26, v219, v27, vcc
	v_add_f32_e32 v26, 1.0, v26
	v_rcp_f32_e32 v26, v26
	v_fma_f32 v26, v26, -2.0, 1.0
.LBB22_25:                              ;   in Loop: Header=BB22_17 Depth=1
	s_andn2_saveexec_b64 s[18:19], s[18:19]
; %bb.26:                               ;   in Loop: Header=BB22_17 Depth=1
	v_mul_f32_e32 v26, v25, v25
	v_mov_b32_e32 v27, 0x3ca908c9
	v_fmac_f32_e32 v27, 0xbbbac73d, v26
	v_fma_f32 v27, v26, v27, v216
	v_fma_f32 v27, v26, v27, v217
	;; [unrolled: 1-line block ×3, first 2 shown]
	v_mul_f32_e64 v27, |v25|, v27
	v_fma_f32 v26, v26, v27, |v25|
; %bb.27:                               ;   in Loop: Header=BB22_17 Depth=1
	s_or_b64 exec, exec, s[18:19]
	v_bfi_b32 v25, s55, v26, v25
	v_cndmask_b32_e64 v26, 0, 1, s[36:37]
	v_cmp_ne_u32_e64 s[18:19], 1, v26
	s_andn2_b64 vcc, exec, s[36:37]
	v_mul_f32_e32 v25, s27, v25
	s_cbranch_vccnz .LBB22_29
; %bb.28:                               ;   in Loop: Header=BB22_17 Depth=1
	v_mov_b32_e32 v27, s53
	v_add_co_u32_e32 v26, vcc, s6, v60
	v_addc_co_u32_e32 v27, vcc, v61, v27, vcc
	global_load_ushort v26, v[26:27], off
	s_waitcnt vmcnt(0)
	v_fma_mix_f32 v25, v56, v26, v25 op_sel_hi:[0,1,0]
.LBB22_29:                              ;   in Loop: Header=BB22_17 Depth=1
	v_add_co_u32_e32 v26, vcc, s31, v70
	v_addc_co_u32_e32 v27, vcc, 0, v71, vcc
	global_load_dword v28, v[26:27], off offset:2
	global_load_dword v29, v[26:27], off offset:20
	;; [unrolled: 1-line block ×4, first 2 shown]
	v_add_co_u32_e32 v26, vcc, s31, v74
	v_addc_co_u32_e32 v27, vcc, 0, v75, vcc
	global_load_ushort v50, v[26:27], off
	global_load_ushort v51, v[26:27], off offset:18
	global_load_ushort v222, v[26:27], off offset:36
	;; [unrolled: 1-line block ×3, first 2 shown]
	s_waitcnt vmcnt(7)
	v_and_b32_e32 v223, 0xf0f0f0f, v28
	v_lshrrev_b32_e32 v26, 4, v28
	v_and_b32_e32 v224, 0xf0f0f0f, v26
	v_dot4_i32_i8 v26, v223, v34, 0
	s_waitcnt vmcnt(6)
	v_and_b32_e32 v31, 0xf0f0f0f, v29
	v_lshrrev_b32_e32 v28, 4, v29
	s_waitcnt vmcnt(4)
	v_lshrrev_b32_e32 v225, 4, v32
	v_dot4_i32_i8 v228, v224, v35, 0
	v_cvt_f32_i32_e32 v26, v26
	v_and_b32_e32 v27, 0xf0f0f0f, v32
	v_and_b32_e32 v32, 0xf0f0f0f, v28
	;; [unrolled: 1-line block ×3, first 2 shown]
	v_dot4_i32_i8 v225, v31, v36, 0
	v_cvt_f32_i32_e32 v228, v228
	v_and_b32_e32 v29, 0xf0f0f0f, v30
	v_lshrrev_b32_e32 v30, 4, v30
	v_dot4_i32_i8 v229, v32, v37, 0
	v_cvt_f32_i32_e32 v225, v225
	v_and_b32_e32 v30, 0xf0f0f0f, v30
	v_dot4_i32_i8 v226, v29, v38, 0
	v_cvt_f32_i32_e32 v229, v229
	v_dot4_i32_i8 v230, v30, v39, 0
	v_cvt_f32_i32_e32 v226, v226
	v_fma_f32 v26, v2, v26, -v3
	v_dot4_i32_i8 v227, v27, v40, 0
	v_cvt_f32_i32_e32 v230, v230
	v_fma_f32 v228, v2, v228, -v3
	s_waitcnt vmcnt(3)
	v_fma_mix_f32 v26, v26, v50, 0 op_sel_hi:[0,1,0]
	v_dot4_i32_i8 v231, v28, v41, 0
	v_cvt_f32_i32_e32 v227, v227
	v_fma_f32 v225, v4, v225, -v5
	v_fma_mix_f32 v26, v228, v50, v26 op_sel_hi:[0,1,0]
	v_cvt_f32_i32_e32 v231, v231
	v_fma_f32 v229, v4, v229, -v5
	s_waitcnt vmcnt(2)
	v_fma_mix_f32 v26, v225, v51, v26 op_sel_hi:[0,1,0]
	v_fma_f32 v226, v6, v226, -v7
	v_fma_mix_f32 v26, v229, v51, v26 op_sel_hi:[0,1,0]
	v_fma_f32 v230, v6, v230, -v7
	s_waitcnt vmcnt(1)
	v_fma_mix_f32 v26, v226, v222, v26 op_sel_hi:[0,1,0]
	v_fma_mix_f32 v26, v230, v222, v26 op_sel_hi:[0,1,0]
	v_fma_f32 v225, v8, v227, -v9
	v_fma_f32 v231, v8, v231, -v9
	s_waitcnt vmcnt(0)
	v_fma_mix_f32 v26, v225, v33, v26 op_sel_hi:[0,1,0]
	v_fma_mix_f32 v26, v231, v33, v26 op_sel_hi:[0,1,0]
	ds_bpermute_b32 v225, v206, v26
	s_waitcnt lgkmcnt(0)
	v_add_f32_e32 v26, v26, v225
	ds_bpermute_b32 v225, v207, v26
	s_waitcnt lgkmcnt(0)
	v_add_f32_e32 v26, v26, v225
	v_cmp_nlt_f32_e64 s[38:39], |v26|, s42
                                        ; implicit-def: $vgpr225
	s_and_saveexec_b64 s[58:59], s[38:39]
	s_xor_b64 s[38:39], exec, s[58:59]
	s_cbranch_execz .LBB22_31
; %bb.30:                               ;   in Loop: Header=BB22_17 Depth=1
	v_add_f32_e64 v225, |v26|, |v26|
	v_mul_f32_e32 v226, 0x3fb8aa3b, v225
	v_rndne_f32_e32 v227, v226
	v_sub_f32_e32 v228, v226, v227
	v_fma_f32 v226, v225, s43, -v226
	v_fmac_f32_e32 v226, 0x32a5705f, v225
	v_add_f32_e32 v226, v228, v226
	v_cvt_i32_f32_e32 v227, v227
	v_exp_f32_e32 v226, v226
	v_cmp_ngt_f32_e32 vcc, s52, v225
	v_ldexp_f32 v226, v226, v227
	v_cndmask_b32_e32 v226, 0, v226, vcc
	v_cmp_nlt_f32_e32 vcc, s54, v225
	v_cndmask_b32_e32 v225, v219, v226, vcc
	v_add_f32_e32 v225, 1.0, v225
	v_rcp_f32_e32 v225, v225
	v_fma_f32 v225, v225, -2.0, 1.0
.LBB22_31:                              ;   in Loop: Header=BB22_17 Depth=1
	s_andn2_saveexec_b64 s[38:39], s[38:39]
; %bb.32:                               ;   in Loop: Header=BB22_17 Depth=1
	v_mul_f32_e32 v225, v26, v26
	v_mov_b32_e32 v226, 0x3ca908c9
	v_fmac_f32_e32 v226, 0xbbbac73d, v225
	v_fma_f32 v226, v225, v226, v216
	v_fma_f32 v226, v225, v226, v217
	;; [unrolled: 1-line block ×3, first 2 shown]
	v_mul_f32_e64 v226, |v26|, v226
	v_fma_f32 v225, v225, v226, |v26|
; %bb.33:                               ;   in Loop: Header=BB22_17 Depth=1
	s_or_b64 exec, exec, s[38:39]
	v_bfi_b32 v26, s55, v225, v26
	s_and_b64 vcc, exec, s[16:17]
	v_mul_f32_e32 v26, s27, v26
	s_cbranch_vccnz .LBB22_35
; %bb.34:                               ;   in Loop: Header=BB22_17 Depth=1
	v_mov_b32_e32 v226, s53
	v_add_co_u32_e32 v225, vcc, s6, v212
	v_addc_co_u32_e32 v226, vcc, v213, v226, vcc
	global_load_ushort v225, v[225:226], off offset:2
	s_waitcnt vmcnt(0)
	v_fma_mix_f32 v26, v56, v225, v26 op_sel_hi:[0,1,0]
.LBB22_35:                              ;   in Loop: Header=BB22_17 Depth=1
	v_dot4_i32_i8 v223, v223, v42, 0
	v_cvt_f32_i32_e32 v223, v223
	v_dot4_i32_i8 v224, v224, v43, 0
	v_cvt_f32_f16_e32 v50, v50
	v_cvt_f32_i32_e32 v224, v224
	v_dot4_i32_i8 v31, v31, v44, 0
	v_cvt_f32_i32_e32 v31, v31
	v_dot4_i32_i8 v32, v32, v45, 0
	v_cvt_f32_f16_e32 v51, v51
	v_cvt_f32_i32_e32 v32, v32
	v_dot4_i32_i8 v29, v29, v46, 0
	v_fma_f32 v223, v10, v223, -v11
	v_cvt_f32_i32_e32 v29, v29
	v_dot4_i32_i8 v30, v30, v47, 0
	v_cvt_f32_f16_e32 v222, v222
	v_fma_f32 v223, v223, v50, 0
	v_fma_f32 v224, v10, v224, -v11
	v_cvt_f32_i32_e32 v30, v30
	v_dot4_i32_i8 v27, v27, v48, 0
	v_fmac_f32_e32 v223, v224, v50
	v_fma_f32 v31, v12, v31, -v13
	v_cvt_f32_i32_e32 v27, v27
	v_dot4_i32_i8 v28, v28, v49, 0
	v_cvt_f32_f16_e32 v33, v33
	v_fmac_f32_e32 v223, v31, v51
	v_fma_f32 v31, v12, v32, -v13
	v_cvt_f32_i32_e32 v28, v28
	v_fmac_f32_e32 v223, v31, v51
	v_fma_f32 v29, v14, v29, -v15
	v_fmac_f32_e32 v223, v29, v222
	v_fma_f32 v29, v14, v30, -v15
	;; [unrolled: 2-line block ×4, first 2 shown]
	v_fmac_f32_e32 v223, v27, v33
	ds_bpermute_b32 v27, v206, v223
	s_waitcnt lgkmcnt(0)
	v_add_f32_e32 v27, v223, v27
	ds_bpermute_b32 v28, v207, v27
	s_waitcnt lgkmcnt(0)
	v_add_f32_e32 v27, v27, v28
	v_cmp_nlt_f32_e64 s[38:39], |v27|, s42
                                        ; implicit-def: $vgpr28
	s_and_saveexec_b64 s[58:59], s[38:39]
	s_xor_b64 s[38:39], exec, s[58:59]
	s_cbranch_execz .LBB22_37
; %bb.36:                               ;   in Loop: Header=BB22_17 Depth=1
	v_add_f32_e64 v28, |v27|, |v27|
	v_mul_f32_e32 v29, 0x3fb8aa3b, v28
	v_rndne_f32_e32 v30, v29
	v_sub_f32_e32 v31, v29, v30
	v_fma_f32 v29, v28, s43, -v29
	v_fmac_f32_e32 v29, 0x32a5705f, v28
	v_add_f32_e32 v29, v31, v29
	v_cvt_i32_f32_e32 v30, v30
	v_exp_f32_e32 v29, v29
	v_cmp_ngt_f32_e32 vcc, s52, v28
	v_ldexp_f32 v29, v29, v30
	v_cndmask_b32_e32 v29, 0, v29, vcc
	v_cmp_nlt_f32_e32 vcc, s54, v28
	v_cndmask_b32_e32 v28, v219, v29, vcc
	v_add_f32_e32 v28, 1.0, v28
	v_rcp_f32_e32 v28, v28
	v_fma_f32 v28, v28, -2.0, 1.0
.LBB22_37:                              ;   in Loop: Header=BB22_17 Depth=1
	s_andn2_saveexec_b64 s[38:39], s[38:39]
; %bb.38:                               ;   in Loop: Header=BB22_17 Depth=1
	v_mul_f32_e32 v28, v27, v27
	v_mov_b32_e32 v29, 0x3ca908c9
	v_fmac_f32_e32 v29, 0xbbbac73d, v28
	v_fma_f32 v29, v28, v29, v216
	v_fma_f32 v29, v28, v29, v217
	;; [unrolled: 1-line block ×3, first 2 shown]
	v_mul_f32_e64 v29, |v27|, v29
	v_fma_f32 v28, v28, v29, |v27|
; %bb.39:                               ;   in Loop: Header=BB22_17 Depth=1
	s_or_b64 exec, exec, s[38:39]
	v_bfi_b32 v27, s55, v28, v27
	s_and_b64 vcc, exec, s[18:19]
	v_mul_f32_e32 v27, s27, v27
	s_cbranch_vccnz .LBB22_41
; %bb.40:                               ;   in Loop: Header=BB22_17 Depth=1
	v_mov_b32_e32 v29, s53
	v_add_co_u32_e32 v28, vcc, s6, v66
	v_addc_co_u32_e32 v29, vcc, v67, v29, vcc
	global_load_ushort v28, v[28:29], off offset:2
	s_waitcnt vmcnt(0)
	v_fma_mix_f32 v27, v56, v28, v27 op_sel_hi:[0,1,0]
.LBB22_41:                              ;   in Loop: Header=BB22_17 Depth=1
	v_add_co_u32_e32 v28, vcc, s31, v64
	v_addc_co_u32_e32 v29, vcc, 0, v65, vcc
	global_load_dword v30, v[28:29], off offset:2
	global_load_dword v31, v[28:29], off offset:20
	;; [unrolled: 1-line block ×4, first 2 shown]
	v_add_co_u32_e32 v28, vcc, s31, v68
	v_addc_co_u32_e32 v29, vcc, 0, v69, vcc
	global_load_ushort v222, v[28:29], off
	global_load_ushort v223, v[28:29], off offset:18
	global_load_ushort v224, v[28:29], off offset:36
	;; [unrolled: 1-line block ×3, first 2 shown]
	s_waitcnt vmcnt(7)
	v_and_b32_e32 v225, 0xf0f0f0f, v30
	v_lshrrev_b32_e32 v28, 4, v30
	v_and_b32_e32 v226, 0xf0f0f0f, v28
	v_dot4_i32_i8 v28, v225, v34, 0
	s_waitcnt vmcnt(6)
	v_and_b32_e32 v33, 0xf0f0f0f, v31
	v_lshrrev_b32_e32 v30, 4, v31
	s_waitcnt vmcnt(4)
	v_lshrrev_b32_e32 v227, 4, v50
	v_dot4_i32_i8 v230, v226, v35, 0
	v_cvt_f32_i32_e32 v28, v28
	v_and_b32_e32 v29, 0xf0f0f0f, v50
	v_and_b32_e32 v50, 0xf0f0f0f, v30
	;; [unrolled: 1-line block ×3, first 2 shown]
	v_dot4_i32_i8 v227, v33, v36, 0
	v_cvt_f32_i32_e32 v230, v230
	v_and_b32_e32 v31, 0xf0f0f0f, v32
	v_lshrrev_b32_e32 v32, 4, v32
	v_dot4_i32_i8 v231, v50, v37, 0
	v_cvt_f32_i32_e32 v227, v227
	v_and_b32_e32 v32, 0xf0f0f0f, v32
	v_dot4_i32_i8 v228, v31, v38, 0
	v_cvt_f32_i32_e32 v231, v231
	v_dot4_i32_i8 v232, v32, v39, 0
	v_cvt_f32_i32_e32 v228, v228
	v_fma_f32 v28, v2, v28, -v3
	v_dot4_i32_i8 v229, v29, v40, 0
	v_cvt_f32_i32_e32 v232, v232
	v_fma_f32 v230, v2, v230, -v3
	s_waitcnt vmcnt(3)
	v_fma_mix_f32 v28, v28, v222, 0 op_sel_hi:[0,1,0]
	v_dot4_i32_i8 v233, v30, v41, 0
	v_cvt_f32_i32_e32 v229, v229
	v_fma_f32 v227, v4, v227, -v5
	v_fma_mix_f32 v28, v230, v222, v28 op_sel_hi:[0,1,0]
	v_cvt_f32_i32_e32 v233, v233
	v_fma_f32 v231, v4, v231, -v5
	s_waitcnt vmcnt(2)
	v_fma_mix_f32 v28, v227, v223, v28 op_sel_hi:[0,1,0]
	v_fma_f32 v228, v6, v228, -v7
	v_fma_mix_f32 v28, v231, v223, v28 op_sel_hi:[0,1,0]
	v_fma_f32 v232, v6, v232, -v7
	s_waitcnt vmcnt(1)
	v_fma_mix_f32 v28, v228, v224, v28 op_sel_hi:[0,1,0]
	v_fma_mix_f32 v28, v232, v224, v28 op_sel_hi:[0,1,0]
	v_fma_f32 v227, v8, v229, -v9
	v_fma_f32 v233, v8, v233, -v9
	s_waitcnt vmcnt(0)
	v_fma_mix_f32 v28, v227, v51, v28 op_sel_hi:[0,1,0]
	v_fma_mix_f32 v28, v233, v51, v28 op_sel_hi:[0,1,0]
	ds_bpermute_b32 v227, v206, v28
	s_waitcnt lgkmcnt(0)
	v_add_f32_e32 v28, v28, v227
	ds_bpermute_b32 v227, v207, v28
	s_waitcnt lgkmcnt(0)
	v_add_f32_e32 v28, v28, v227
	v_cmp_nlt_f32_e64 s[38:39], |v28|, s42
                                        ; implicit-def: $vgpr227
	s_and_saveexec_b64 s[58:59], s[38:39]
	s_xor_b64 s[38:39], exec, s[58:59]
	s_cbranch_execz .LBB22_43
; %bb.42:                               ;   in Loop: Header=BB22_17 Depth=1
	v_add_f32_e64 v227, |v28|, |v28|
	v_mul_f32_e32 v228, 0x3fb8aa3b, v227
	v_rndne_f32_e32 v229, v228
	v_sub_f32_e32 v230, v228, v229
	v_fma_f32 v228, v227, s43, -v228
	v_fmac_f32_e32 v228, 0x32a5705f, v227
	v_add_f32_e32 v228, v230, v228
	v_cvt_i32_f32_e32 v229, v229
	v_exp_f32_e32 v228, v228
	v_cmp_ngt_f32_e32 vcc, s52, v227
	v_ldexp_f32 v228, v228, v229
	v_cndmask_b32_e32 v228, 0, v228, vcc
	v_cmp_nlt_f32_e32 vcc, s54, v227
	v_cndmask_b32_e32 v227, v219, v228, vcc
	v_add_f32_e32 v227, 1.0, v227
	v_rcp_f32_e32 v227, v227
	v_fma_f32 v227, v227, -2.0, 1.0
.LBB22_43:                              ;   in Loop: Header=BB22_17 Depth=1
	s_andn2_saveexec_b64 s[38:39], s[38:39]
; %bb.44:                               ;   in Loop: Header=BB22_17 Depth=1
	v_mul_f32_e32 v227, v28, v28
	v_mov_b32_e32 v228, 0x3ca908c9
	v_fmac_f32_e32 v228, 0xbbbac73d, v227
	v_fma_f32 v228, v227, v228, v216
	v_fma_f32 v228, v227, v228, v217
	;; [unrolled: 1-line block ×3, first 2 shown]
	v_mul_f32_e64 v228, |v28|, v228
	v_fma_f32 v227, v227, v228, |v28|
; %bb.45:                               ;   in Loop: Header=BB22_17 Depth=1
	s_or_b64 exec, exec, s[38:39]
	v_bfi_b32 v28, s55, v227, v28
	s_and_b64 vcc, exec, s[16:17]
	v_mul_f32_e32 v28, s27, v28
	s_cbranch_vccnz .LBB22_47
; %bb.46:                               ;   in Loop: Header=BB22_17 Depth=1
	v_mov_b32_e32 v228, s53
	v_add_co_u32_e32 v227, vcc, s6, v212
	v_addc_co_u32_e32 v228, vcc, v213, v228, vcc
	global_load_ushort v227, v[227:228], off offset:4
	s_waitcnt vmcnt(0)
	v_fma_mix_f32 v28, v56, v227, v28 op_sel_hi:[0,1,0]
.LBB22_47:                              ;   in Loop: Header=BB22_17 Depth=1
	v_dot4_i32_i8 v225, v225, v42, 0
	v_cvt_f32_i32_e32 v225, v225
	v_dot4_i32_i8 v226, v226, v43, 0
	v_cvt_f32_f16_e32 v222, v222
	v_cvt_f32_i32_e32 v226, v226
	v_dot4_i32_i8 v33, v33, v44, 0
	v_cvt_f32_i32_e32 v33, v33
	v_dot4_i32_i8 v50, v50, v45, 0
	v_cvt_f32_f16_e32 v223, v223
	v_cvt_f32_i32_e32 v50, v50
	v_dot4_i32_i8 v31, v31, v46, 0
	v_fma_f32 v225, v10, v225, -v11
	v_cvt_f32_i32_e32 v31, v31
	v_dot4_i32_i8 v32, v32, v47, 0
	v_cvt_f32_f16_e32 v224, v224
	v_fma_f32 v225, v225, v222, 0
	v_fma_f32 v226, v10, v226, -v11
	v_cvt_f32_i32_e32 v32, v32
	v_dot4_i32_i8 v29, v29, v48, 0
	v_fmac_f32_e32 v225, v226, v222
	v_fma_f32 v33, v12, v33, -v13
	v_cvt_f32_i32_e32 v29, v29
	v_dot4_i32_i8 v30, v30, v49, 0
	v_cvt_f32_f16_e32 v51, v51
	v_fmac_f32_e32 v225, v33, v223
	v_fma_f32 v33, v12, v50, -v13
	v_cvt_f32_i32_e32 v30, v30
	v_fmac_f32_e32 v225, v33, v223
	v_fma_f32 v31, v14, v31, -v15
	v_fmac_f32_e32 v225, v31, v224
	v_fma_f32 v31, v14, v32, -v15
	;; [unrolled: 2-line block ×4, first 2 shown]
	v_fmac_f32_e32 v225, v29, v51
	ds_bpermute_b32 v29, v206, v225
	s_waitcnt lgkmcnt(0)
	v_add_f32_e32 v29, v225, v29
	ds_bpermute_b32 v30, v207, v29
	s_waitcnt lgkmcnt(0)
	v_add_f32_e32 v29, v29, v30
	v_cmp_nlt_f32_e64 s[38:39], |v29|, s42
                                        ; implicit-def: $vgpr30
	s_and_saveexec_b64 s[58:59], s[38:39]
	s_xor_b64 s[38:39], exec, s[58:59]
	s_cbranch_execz .LBB22_49
; %bb.48:                               ;   in Loop: Header=BB22_17 Depth=1
	v_add_f32_e64 v30, |v29|, |v29|
	v_mul_f32_e32 v31, 0x3fb8aa3b, v30
	v_rndne_f32_e32 v32, v31
	v_sub_f32_e32 v33, v31, v32
	v_fma_f32 v31, v30, s43, -v31
	v_fmac_f32_e32 v31, 0x32a5705f, v30
	v_add_f32_e32 v31, v33, v31
	v_cvt_i32_f32_e32 v32, v32
	v_exp_f32_e32 v31, v31
	v_cmp_ngt_f32_e32 vcc, s52, v30
	v_ldexp_f32 v31, v31, v32
	v_cndmask_b32_e32 v31, 0, v31, vcc
	v_cmp_nlt_f32_e32 vcc, s54, v30
	v_cndmask_b32_e32 v30, v219, v31, vcc
	v_add_f32_e32 v30, 1.0, v30
	v_rcp_f32_e32 v30, v30
	v_fma_f32 v30, v30, -2.0, 1.0
.LBB22_49:                              ;   in Loop: Header=BB22_17 Depth=1
	s_andn2_saveexec_b64 s[38:39], s[38:39]
; %bb.50:                               ;   in Loop: Header=BB22_17 Depth=1
	v_mul_f32_e32 v30, v29, v29
	v_mov_b32_e32 v31, 0x3ca908c9
	v_fmac_f32_e32 v31, 0xbbbac73d, v30
	v_fma_f32 v31, v30, v31, v216
	v_fma_f32 v31, v30, v31, v217
	;; [unrolled: 1-line block ×3, first 2 shown]
	v_mul_f32_e64 v31, |v29|, v31
	v_fma_f32 v30, v30, v31, |v29|
; %bb.51:                               ;   in Loop: Header=BB22_17 Depth=1
	s_or_b64 exec, exec, s[38:39]
	v_bfi_b32 v29, s55, v30, v29
	s_and_b64 vcc, exec, s[18:19]
	v_mul_f32_e32 v29, s27, v29
	s_cbranch_vccnz .LBB22_53
; %bb.52:                               ;   in Loop: Header=BB22_17 Depth=1
	v_mov_b32_e32 v31, s53
	v_add_co_u32_e32 v30, vcc, s6, v66
	v_addc_co_u32_e32 v31, vcc, v67, v31, vcc
	global_load_ushort v30, v[30:31], off offset:4
	s_waitcnt vmcnt(0)
	v_fma_mix_f32 v29, v56, v30, v29 op_sel_hi:[0,1,0]
.LBB22_53:                              ;   in Loop: Header=BB22_17 Depth=1
	v_add_co_u32_e32 v30, vcc, s31, v58
	v_addc_co_u32_e32 v31, vcc, 0, v59, vcc
	global_load_dword v32, v[30:31], off offset:2
	global_load_dword v33, v[30:31], off offset:20
	;; [unrolled: 1-line block ×4, first 2 shown]
	v_add_co_u32_e32 v30, vcc, s31, v62
	v_addc_co_u32_e32 v31, vcc, 0, v63, vcc
	global_load_ushort v224, v[30:31], off
	global_load_ushort v225, v[30:31], off offset:18
	global_load_ushort v226, v[30:31], off offset:36
	;; [unrolled: 1-line block ×3, first 2 shown]
	s_waitcnt vmcnt(7)
	v_and_b32_e32 v227, 0xf0f0f0f, v32
	v_lshrrev_b32_e32 v30, 4, v32
	v_and_b32_e32 v228, 0xf0f0f0f, v30
	v_dot4_i32_i8 v30, v227, v34, 0
	s_waitcnt vmcnt(6)
	v_and_b32_e32 v51, 0xf0f0f0f, v33
	v_lshrrev_b32_e32 v32, 4, v33
	s_waitcnt vmcnt(4)
	v_lshrrev_b32_e32 v229, 4, v222
	v_dot4_i32_i8 v232, v228, v35, 0
	v_cvt_f32_i32_e32 v30, v30
	v_and_b32_e32 v31, 0xf0f0f0f, v222
	v_and_b32_e32 v222, 0xf0f0f0f, v32
	;; [unrolled: 1-line block ×3, first 2 shown]
	v_dot4_i32_i8 v229, v51, v36, 0
	v_cvt_f32_i32_e32 v232, v232
	v_and_b32_e32 v33, 0xf0f0f0f, v50
	v_lshrrev_b32_e32 v50, 4, v50
	v_dot4_i32_i8 v233, v222, v37, 0
	v_cvt_f32_i32_e32 v229, v229
	v_and_b32_e32 v50, 0xf0f0f0f, v50
	v_dot4_i32_i8 v230, v33, v38, 0
	v_cvt_f32_i32_e32 v233, v233
	v_dot4_i32_i8 v234, v50, v39, 0
	v_cvt_f32_i32_e32 v230, v230
	v_fma_f32 v30, v2, v30, -v3
	v_dot4_i32_i8 v231, v31, v40, 0
	v_cvt_f32_i32_e32 v234, v234
	v_fma_f32 v232, v2, v232, -v3
	s_waitcnt vmcnt(3)
	v_fma_mix_f32 v30, v30, v224, 0 op_sel_hi:[0,1,0]
	v_dot4_i32_i8 v235, v32, v41, 0
	v_cvt_f32_i32_e32 v231, v231
	v_fma_f32 v229, v4, v229, -v5
	v_fma_mix_f32 v30, v232, v224, v30 op_sel_hi:[0,1,0]
	v_cvt_f32_i32_e32 v235, v235
	v_fma_f32 v233, v4, v233, -v5
	s_waitcnt vmcnt(2)
	v_fma_mix_f32 v30, v229, v225, v30 op_sel_hi:[0,1,0]
	v_fma_f32 v230, v6, v230, -v7
	v_fma_mix_f32 v30, v233, v225, v30 op_sel_hi:[0,1,0]
	v_fma_f32 v234, v6, v234, -v7
	s_waitcnt vmcnt(1)
	v_fma_mix_f32 v30, v230, v226, v30 op_sel_hi:[0,1,0]
	v_fma_mix_f32 v30, v234, v226, v30 op_sel_hi:[0,1,0]
	v_fma_f32 v229, v8, v231, -v9
	v_fma_f32 v235, v8, v235, -v9
	s_waitcnt vmcnt(0)
	v_fma_mix_f32 v30, v229, v223, v30 op_sel_hi:[0,1,0]
	v_fma_mix_f32 v30, v235, v223, v30 op_sel_hi:[0,1,0]
	ds_bpermute_b32 v229, v206, v30
	s_waitcnt lgkmcnt(0)
	v_add_f32_e32 v30, v30, v229
	ds_bpermute_b32 v229, v207, v30
	s_waitcnt lgkmcnt(0)
	v_add_f32_e32 v30, v30, v229
	v_cmp_nlt_f32_e64 s[38:39], |v30|, s42
                                        ; implicit-def: $vgpr229
	s_and_saveexec_b64 s[58:59], s[38:39]
	s_xor_b64 s[38:39], exec, s[58:59]
	s_cbranch_execz .LBB22_55
; %bb.54:                               ;   in Loop: Header=BB22_17 Depth=1
	v_add_f32_e64 v229, |v30|, |v30|
	v_mul_f32_e32 v230, 0x3fb8aa3b, v229
	v_rndne_f32_e32 v231, v230
	v_sub_f32_e32 v232, v230, v231
	v_fma_f32 v230, v229, s43, -v230
	v_fmac_f32_e32 v230, 0x32a5705f, v229
	v_add_f32_e32 v230, v232, v230
	v_cvt_i32_f32_e32 v231, v231
	v_exp_f32_e32 v230, v230
	v_cmp_ngt_f32_e32 vcc, s52, v229
	v_ldexp_f32 v230, v230, v231
	v_cndmask_b32_e32 v230, 0, v230, vcc
	v_cmp_nlt_f32_e32 vcc, s54, v229
	v_cndmask_b32_e32 v229, v219, v230, vcc
	v_add_f32_e32 v229, 1.0, v229
	v_rcp_f32_e32 v229, v229
	v_fma_f32 v229, v229, -2.0, 1.0
.LBB22_55:                              ;   in Loop: Header=BB22_17 Depth=1
	s_andn2_saveexec_b64 s[38:39], s[38:39]
; %bb.56:                               ;   in Loop: Header=BB22_17 Depth=1
	v_mul_f32_e32 v229, v30, v30
	v_mov_b32_e32 v230, 0x3ca908c9
	v_fmac_f32_e32 v230, 0xbbbac73d, v229
	v_fma_f32 v230, v229, v230, v216
	v_fma_f32 v230, v229, v230, v217
	v_fma_f32 v230, v229, v230, v218
	v_mul_f32_e64 v230, |v30|, v230
	v_fma_f32 v229, v229, v230, |v30|
; %bb.57:                               ;   in Loop: Header=BB22_17 Depth=1
	s_or_b64 exec, exec, s[38:39]
	v_bfi_b32 v30, s55, v229, v30
	s_and_b64 vcc, exec, s[16:17]
	v_mul_f32_e32 v30, s27, v30
	s_cbranch_vccnz .LBB22_59
; %bb.58:                               ;   in Loop: Header=BB22_17 Depth=1
	v_mov_b32_e32 v230, s53
	v_add_co_u32_e32 v229, vcc, s6, v212
	v_addc_co_u32_e32 v230, vcc, v213, v230, vcc
	global_load_ushort v229, v[229:230], off offset:6
	s_waitcnt vmcnt(0)
	v_fma_mix_f32 v30, v56, v229, v30 op_sel_hi:[0,1,0]
.LBB22_59:                              ;   in Loop: Header=BB22_17 Depth=1
	v_dot4_i32_i8 v227, v227, v42, 0
	v_cvt_f32_i32_e32 v227, v227
	v_dot4_i32_i8 v228, v228, v43, 0
	v_cvt_f32_f16_e32 v224, v224
	v_cvt_f32_i32_e32 v228, v228
	v_dot4_i32_i8 v51, v51, v44, 0
	v_cvt_f32_i32_e32 v51, v51
	v_dot4_i32_i8 v222, v222, v45, 0
	v_cvt_f32_f16_e32 v225, v225
	v_cvt_f32_i32_e32 v222, v222
	v_dot4_i32_i8 v33, v33, v46, 0
	v_fma_f32 v227, v10, v227, -v11
	v_cvt_f32_i32_e32 v33, v33
	v_dot4_i32_i8 v50, v50, v47, 0
	v_cvt_f32_f16_e32 v226, v226
	v_fma_f32 v227, v227, v224, 0
	v_fma_f32 v228, v10, v228, -v11
	v_cvt_f32_i32_e32 v50, v50
	v_dot4_i32_i8 v31, v31, v48, 0
	v_fmac_f32_e32 v227, v228, v224
	v_fma_f32 v51, v12, v51, -v13
	v_cvt_f32_i32_e32 v31, v31
	v_dot4_i32_i8 v32, v32, v49, 0
	v_cvt_f32_f16_e32 v223, v223
	v_fmac_f32_e32 v227, v51, v225
	v_fma_f32 v51, v12, v222, -v13
	v_cvt_f32_i32_e32 v32, v32
	v_fmac_f32_e32 v227, v51, v225
	v_fma_f32 v33, v14, v33, -v15
	v_fmac_f32_e32 v227, v33, v226
	v_fma_f32 v33, v14, v50, -v15
	;; [unrolled: 2-line block ×4, first 2 shown]
	v_fmac_f32_e32 v227, v31, v223
	ds_bpermute_b32 v31, v206, v227
	s_waitcnt lgkmcnt(0)
	v_add_f32_e32 v31, v227, v31
	ds_bpermute_b32 v32, v207, v31
	s_waitcnt lgkmcnt(0)
	v_add_f32_e32 v31, v31, v32
	v_cmp_nlt_f32_e64 s[16:17], |v31|, s42
                                        ; implicit-def: $vgpr32
	s_and_saveexec_b64 s[38:39], s[16:17]
	s_xor_b64 s[16:17], exec, s[38:39]
	s_cbranch_execz .LBB22_61
; %bb.60:                               ;   in Loop: Header=BB22_17 Depth=1
	v_add_f32_e64 v32, |v31|, |v31|
	v_mul_f32_e32 v33, 0x3fb8aa3b, v32
	v_rndne_f32_e32 v50, v33
	v_sub_f32_e32 v51, v33, v50
	v_fma_f32 v33, v32, s43, -v33
	v_fmac_f32_e32 v33, 0x32a5705f, v32
	v_add_f32_e32 v33, v51, v33
	v_cvt_i32_f32_e32 v50, v50
	v_exp_f32_e32 v33, v33
	v_cmp_ngt_f32_e32 vcc, s52, v32
	v_ldexp_f32 v33, v33, v50
	v_cndmask_b32_e32 v33, 0, v33, vcc
	v_cmp_nlt_f32_e32 vcc, s54, v32
	v_cndmask_b32_e32 v32, v219, v33, vcc
	v_add_f32_e32 v32, 1.0, v32
	v_rcp_f32_e32 v32, v32
	v_fma_f32 v32, v32, -2.0, 1.0
.LBB22_61:                              ;   in Loop: Header=BB22_17 Depth=1
	s_andn2_saveexec_b64 s[16:17], s[16:17]
; %bb.62:                               ;   in Loop: Header=BB22_17 Depth=1
	v_mul_f32_e32 v32, v31, v31
	v_mov_b32_e32 v33, 0x3ca908c9
	v_fmac_f32_e32 v33, 0xbbbac73d, v32
	v_fma_f32 v33, v32, v33, v216
	v_fma_f32 v33, v32, v33, v217
	;; [unrolled: 1-line block ×3, first 2 shown]
	v_mul_f32_e64 v33, |v31|, v33
	v_fma_f32 v32, v32, v33, |v31|
; %bb.63:                               ;   in Loop: Header=BB22_17 Depth=1
	s_or_b64 exec, exec, s[16:17]
	v_bfi_b32 v31, s55, v32, v31
	s_and_b64 vcc, exec, s[18:19]
	v_mul_f32_e32 v31, s27, v31
	s_cbranch_vccnz .LBB22_65
; %bb.64:                               ;   in Loop: Header=BB22_17 Depth=1
	v_mov_b32_e32 v33, s53
	v_add_co_u32_e32 v32, vcc, s6, v66
	v_addc_co_u32_e32 v33, vcc, v67, v33, vcc
	global_load_ushort v32, v[32:33], off offset:6
	s_waitcnt vmcnt(0)
	v_fma_mix_f32 v31, v56, v32, v31 op_sel_hi:[0,1,0]
.LBB22_65:                              ;   in Loop: Header=BB22_17 Depth=1
	v_add_f32_e32 v32, 0x40051340, v24
	v_add_f32_e32 v33, 0x40051340, v26
	v_max3_f32 v32, v23, v32, v33
	v_add_f32_e32 v33, 0x40051340, v28
	v_add_f32_e32 v50, 0x40051340, v30
	v_max3_f32 v32, v32, v33, v50
	ds_bpermute_b32 v33, v208, v32
	v_cndmask_b32_e64 v24, v220, v24, s[8:9]
	v_cndmask_b32_e64 v24, v24, v26, s[10:11]
	;; [unrolled: 1-line block ×4, first 2 shown]
	s_waitcnt lgkmcnt(0)
	v_max_f32_e32 v33, v33, v33
	v_max_f32_e32 v32, v32, v33
	ds_bpermute_b32 v33, v209, v32
	v_cndmask_b32_e64 v50, v50, v27, s[10:11]
	v_cndmask_b32_e64 v26, v50, v29, s[12:13]
	v_add_f32_e32 v25, 0x40051340, v25
	v_add_f32_e32 v27, 0x40051340, v27
	s_waitcnt lgkmcnt(0)
	v_max_f32_e32 v28, v33, v33
	v_max_f32_e32 v28, v32, v28
	ds_bpermute_b32 v32, v210, v28
	v_max3_f32 v25, v22, v25, v27
	v_add_f32_e32 v27, 0x40051340, v29
	v_add_f32_e32 v29, 0x40051340, v31
	v_cndmask_b32_e64 v24, v24, v30, s[14:15]
	s_waitcnt lgkmcnt(0)
	v_max_f32_e32 v32, v32, v32
	v_max_f32_e32 v50, v28, v32
	v_sub_f32_e32 v23, v23, v50
	v_mul_f32_e32 v28, 0x3fb8aa3b, v23
	v_fma_f32 v32, v23, s43, -v28
	v_rndne_f32_e32 v33, v28
	v_fmac_f32_e32 v32, 0x32a5705f, v23
	v_sub_f32_e32 v28, v28, v33
	v_add_f32_e32 v28, v28, v32
	v_exp_f32_e32 v28, v28
	v_cvt_i32_f32_e32 v32, v33
	v_max3_f32 v25, v25, v27, v29
	v_cndmask_b32_e64 v27, v26, v31, s[14:15]
	v_cmp_ngt_f32_e32 vcc, s52, v23
	v_ldexp_f32 v26, v28, v32
	v_sub_f32_e32 v28, v24, v50
	v_mul_f32_e32 v24, 0x3fb8aa3b, v28
	v_fma_f32 v29, v28, s43, -v24
	v_rndne_f32_e32 v30, v24
	v_fmac_f32_e32 v29, 0x32a5705f, v28
	v_sub_f32_e32 v24, v24, v30
	v_add_f32_e32 v24, v24, v29
	v_cvt_i32_f32_e32 v29, v30
	ds_bpermute_b32 v30, v208, v25
	v_cndmask_b32_e32 v26, 0, v26, vcc
	v_cmp_nlt_f32_e32 vcc, s54, v23
	v_exp_f32_e32 v24, v24
	v_cndmask_b32_e32 v31, v219, v26, vcc
	s_waitcnt lgkmcnt(0)
	v_max_f32_e32 v23, v30, v30
	v_max_f32_e32 v30, v25, v23
	ds_bpermute_b32 v32, v209, v30
	v_add_co_u32_e32 v23, vcc, s29, v72
	v_ldexp_f32 v29, v24, v29
	v_addc_co_u32_e32 v24, vcc, 0, v73, vcc
	v_add_co_u32_e32 v25, vcc, s29, v78
	v_addc_co_u32_e32 v26, vcc, 0, v79, vcc
	global_load_ushort v230, v[23:24], off
	global_load_dword v231, v[25:26], off offset:2
	s_waitcnt lgkmcnt(0)
	v_max_f32_e32 v24, v32, v32
	v_max_f32_e32 v24, v30, v24
	ds_bpermute_b32 v25, v210, v24
	v_cmp_ngt_f32_e32 vcc, s52, v28
	v_cndmask_b32_e32 v23, 0, v29, vcc
	v_cmp_nlt_f32_e32 vcc, s54, v28
	v_cndmask_b32_e32 v220, v219, v23, vcc
	s_waitcnt lgkmcnt(0)
	v_max_f32_e32 v23, v25, v25
	v_max_f32_e32 v51, v24, v23
	v_sub_f32_e32 v29, v22, v51
	v_mul_f32_e32 v22, 0x3fb8aa3b, v29
	v_fma_f32 v23, v29, s43, -v22
	v_rndne_f32_e32 v30, v22
	v_fmac_f32_e32 v23, 0x32a5705f, v29
	v_sub_f32_e32 v22, v22, v30
	v_add_f32_e32 v22, v22, v23
	v_fma_f32 v100, v100, v31, v220
	v_cvt_f16_f32_e32 v28, v31
	v_exp_f32_e32 v31, v22
	v_add_co_u32_e32 v22, vcc, s29, v80
	v_addc_co_u32_e32 v23, vcc, 0, v81, vcc
	v_add_co_u32_e32 v24, vcc, s29, v204
	v_addc_co_u32_e32 v25, vcc, 0, v205, vcc
	global_load_ushort v234, v[22:23], off
	global_load_dword v235, v[24:25], off offset:2
	v_cvt_i32_f32_e32 v22, v30
	v_cvt_f16_f32_e32 v26, v220
	v_mul_u32_u24_e32 v23, 0x10001, v28
	v_pk_mul_f16 v236, v21, v23
	v_ldexp_f32 v21, v31, v22
	v_sub_f32_e32 v22, v27, v51
	v_mul_f32_e32 v24, 0x3fb8aa3b, v22
	ds_write_b16 v55, v26
	v_fma_f32 v25, v22, s43, -v24
	v_rndne_f32_e32 v26, v24
	v_fmac_f32_e32 v25, 0x32a5705f, v22
	v_sub_f32_e32 v24, v24, v26
	v_add_f32_e32 v24, v24, v25
	v_exp_f32_e32 v24, v24
	v_cvt_i32_f32_e32 v25, v26
	v_cmp_ngt_f32_e32 vcc, s52, v29
	v_cndmask_b32_e32 v21, 0, v21, vcc
	v_cmp_nlt_f32_e32 vcc, s54, v29
	v_cndmask_b32_e32 v21, v219, v21, vcc
	v_ldexp_f32 v24, v24, v25
	v_cmp_ngt_f32_e32 vcc, s52, v22
	v_cndmask_b32_e32 v24, 0, v24, vcc
	v_cmp_nlt_f32_e32 vcc, s54, v22
	v_cndmask_b32_e32 v221, v219, v24, vcc
	v_cvt_f16_f32_e32 v22, v221
	v_pk_mul_f16 v237, v20, v23
	v_add_co_u32_e32 v20, vcc, s29, v202
	v_cvt_f16_f32_e32 v24, v21
	v_fma_f32 v117, v117, v21, v221
	v_addc_co_u32_e32 v21, vcc, 0, v203, vcc
	ds_write_b16 v55, v22 offset:256
	v_add_co_u32_e32 v22, vcc, s29, v200
	v_addc_co_u32_e32 v23, vcc, 0, v201, vcc
	global_load_ushort v238, v[20:21], off
	global_load_dword v239, v[22:23], off offset:2
	v_mul_u32_u24_e32 v24, 0x10001, v24
	v_pk_mul_f16 v240, v18, v24
	v_pk_mul_f16 v241, v19, v24
	ds_read_b128 v[222:225], v211
	ds_read_b128 v[26:29], v211 offset:16
	ds_read_b128 v[226:229], v211 offset:256
	;; [unrolled: 1-line block ×5, first 2 shown]
	s_waitcnt lgkmcnt(5)
	v_mul_u32_u24_sdwa v242, v222, s56 dst_sel:DWORD dst_unused:UNUSED_PAD src0_sel:WORD_0 src1_sel:DWORD
	s_waitcnt lgkmcnt(3)
	v_mul_u32_u24_sdwa v243, v226, s56 dst_sel:DWORD dst_unused:UNUSED_PAD src0_sel:WORD_0 src1_sel:DWORD
	v_mul_u32_u24_sdwa v222, v222, s56 dst_sel:DWORD dst_unused:UNUSED_PAD src0_sel:WORD_1 src1_sel:DWORD
	v_mul_u32_u24_sdwa v226, v226, s56 dst_sel:DWORD dst_unused:UNUSED_PAD src0_sel:WORD_1 src1_sel:DWORD
	s_add_i32 s28, s28, s30
	s_cmp_ge_i32 s28, s25
	s_waitcnt vmcnt(5)
	v_mul_u32_u24_e32 v244, 0x10001, v230
	s_waitcnt vmcnt(4)
	v_pk_lshrrev_b16 v230, 8, v231 op_sel:[1,0] op_sel_hi:[0,0]
	v_lshrrev_b32_e32 v232, 16, v230
	v_cvt_f16_i16_sdwa v230, sext(v230) dst_sel:DWORD dst_unused:UNUSED_PAD src0_sel:BYTE_0
	v_cvt_f16_i16_sdwa v232, sext(v232) dst_sel:DWORD dst_unused:UNUSED_PAD src0_sel:BYTE_0
	v_pack_b32_f16 v230, v230, v232
	v_pk_mul_f16 v245, v230, v244
	v_add_co_u32_e32 v230, vcc, s29, v198
	v_pk_lshrrev_b16 v246, 8, v231 op_sel:[1,1] op_sel_hi:[0,1]
	v_addc_co_u32_e32 v231, vcc, 0, v199, vcc
	v_add_co_u32_e32 v232, vcc, s29, v196
	v_addc_co_u32_e32 v233, vcc, 0, v197, vcc
	global_load_ushort v248, v[230:231], off
	global_load_dword v249, v[232:233], off offset:2
	v_lshrrev_b32_e32 v247, 16, v246
	v_cvt_f16_i16_sdwa v230, sext(v246) dst_sel:DWORD dst_unused:UNUSED_PAD src0_sel:BYTE_0
	v_cvt_f16_i16_sdwa v231, sext(v247) dst_sel:DWORD dst_unused:UNUSED_PAD src0_sel:BYTE_0
	v_pack_b32_f16 v230, v230, v231
	v_pk_mul_f16 v230, v230, v244
	v_pk_fma_f16 v237, v230, v242, v237
	v_pk_fma_f16 v241, v230, v243, v241
	v_pk_fma_f16 v236, v245, v242, v236
	v_pk_fma_f16 v240, v245, v243, v240
	s_waitcnt vmcnt(5)
	v_mul_u32_u24_e32 v234, 0x10001, v234
	s_waitcnt vmcnt(4)
	v_pk_lshrrev_b16 v230, 8, v235 op_sel:[1,0] op_sel_hi:[0,0]
	v_lshrrev_b32_e32 v231, 16, v230
	v_cvt_f16_i16_sdwa v230, sext(v230) dst_sel:DWORD dst_unused:UNUSED_PAD src0_sel:BYTE_0
	v_cvt_f16_i16_sdwa v231, sext(v231) dst_sel:DWORD dst_unused:UNUSED_PAD src0_sel:BYTE_0
	v_pack_b32_f16 v230, v230, v231
	v_pk_mul_f16 v242, v230, v234
	v_add_co_u32_e32 v230, vcc, s29, v194
	v_addc_co_u32_e32 v231, vcc, 0, v195, vcc
	v_add_co_u32_e32 v232, vcc, s29, v192
	v_pk_lshrrev_b16 v235, 8, v235 op_sel:[1,1] op_sel_hi:[0,1]
	v_addc_co_u32_e32 v233, vcc, 0, v193, vcc
	global_load_ushort v244, v[230:231], off
	global_load_dword v245, v[232:233], off offset:2
	v_lshrrev_b32_e32 v243, 16, v235
	v_cvt_f16_i16_sdwa v230, sext(v235) dst_sel:DWORD dst_unused:UNUSED_PAD src0_sel:BYTE_0
	v_cvt_f16_i16_sdwa v231, sext(v243) dst_sel:DWORD dst_unused:UNUSED_PAD src0_sel:BYTE_0
	v_pack_b32_f16 v230, v230, v231
	v_pk_mul_f16 v230, v230, v234
	v_pk_fma_f16 v234, v242, v222, v236
	v_pk_fma_f16 v235, v242, v226, v240
	;; [unrolled: 1-line block ×4, first 2 shown]
	v_add_co_u32_e32 v230, vcc, s29, v190
	v_addc_co_u32_e32 v231, vcc, 0, v191, vcc
	v_add_co_u32_e32 v232, vcc, s29, v188
	v_addc_co_u32_e32 v233, vcc, 0, v189, vcc
	global_load_ushort v237, v[230:231], off
	s_nop 0
	global_load_dword v232, v[232:233], off offset:2
	v_mul_u32_u24_sdwa v236, v223, s56 dst_sel:DWORD dst_unused:UNUSED_PAD src0_sel:WORD_0 src1_sel:DWORD
	v_mul_u32_u24_sdwa v230, v227, s56 dst_sel:DWORD dst_unused:UNUSED_PAD src0_sel:WORD_0 src1_sel:DWORD
	s_waitcnt vmcnt(7)
	v_mul_u32_u24_e32 v231, 0x10001, v238
	s_waitcnt vmcnt(6)
	v_pk_lshrrev_b16 v233, 8, v239 op_sel:[1,0] op_sel_hi:[0,0]
	v_lshrrev_b32_e32 v238, 16, v233
	v_cvt_f16_i16_sdwa v233, sext(v233) dst_sel:DWORD dst_unused:UNUSED_PAD src0_sel:BYTE_0
	v_cvt_f16_i16_sdwa v238, sext(v238) dst_sel:DWORD dst_unused:UNUSED_PAD src0_sel:BYTE_0
	v_pack_b32_f16 v233, v233, v238
	v_pk_lshrrev_b16 v238, 8, v239 op_sel:[1,1] op_sel_hi:[0,1]
	v_lshrrev_b32_e32 v239, 16, v238
	v_cvt_f16_i16_sdwa v238, sext(v238) dst_sel:DWORD dst_unused:UNUSED_PAD src0_sel:BYTE_0
	v_cvt_f16_i16_sdwa v239, sext(v239) dst_sel:DWORD dst_unused:UNUSED_PAD src0_sel:BYTE_0
	v_pack_b32_f16 v238, v238, v239
	v_pk_mul_f16 v233, v233, v231
	v_pk_mul_f16 v231, v238, v231
	v_pk_fma_f16 v234, v233, v236, v234
	v_pk_fma_f16 v233, v233, v230, v235
	v_pk_fma_f16 v235, v231, v236, v222
	v_add_co_u32_e32 v222, vcc, s29, v186
	v_mul_u32_u24_sdwa v236, v223, s56 dst_sel:DWORD dst_unused:UNUSED_PAD src0_sel:WORD_1 src1_sel:DWORD
	v_addc_co_u32_e32 v223, vcc, 0, v187, vcc
	v_pk_fma_f16 v226, v231, v230, v226
	v_add_co_u32_e32 v230, vcc, s29, v184
	v_addc_co_u32_e32 v231, vcc, 0, v185, vcc
	global_load_ushort v238, v[222:223], off
	s_nop 0
	global_load_dword v230, v[230:231], off offset:2
	v_mul_u32_u24_sdwa v222, v227, s56 dst_sel:DWORD dst_unused:UNUSED_PAD src0_sel:WORD_1 src1_sel:DWORD
	s_waitcnt vmcnt(7)
	v_mul_u32_u24_e32 v223, 0x10001, v248
	s_waitcnt vmcnt(6)
	v_pk_lshrrev_b16 v227, 8, v249 op_sel:[1,0] op_sel_hi:[0,0]
	v_lshrrev_b32_e32 v231, 16, v227
	v_cvt_f16_i16_sdwa v227, sext(v227) dst_sel:DWORD dst_unused:UNUSED_PAD src0_sel:BYTE_0
	v_cvt_f16_i16_sdwa v231, sext(v231) dst_sel:DWORD dst_unused:UNUSED_PAD src0_sel:BYTE_0
	v_pack_b32_f16 v227, v227, v231
	v_pk_lshrrev_b16 v231, 8, v249 op_sel:[1,1] op_sel_hi:[0,1]
	v_lshrrev_b32_e32 v239, 16, v231
	v_cvt_f16_i16_sdwa v231, sext(v231) dst_sel:DWORD dst_unused:UNUSED_PAD src0_sel:BYTE_0
	v_cvt_f16_i16_sdwa v239, sext(v239) dst_sel:DWORD dst_unused:UNUSED_PAD src0_sel:BYTE_0
	v_pack_b32_f16 v231, v231, v239
	v_pk_mul_f16 v227, v227, v223
	v_pk_mul_f16 v223, v231, v223
	v_pk_fma_f16 v231, v227, v236, v234
	v_pk_fma_f16 v233, v227, v222, v233
	;; [unrolled: 1-line block ×4, first 2 shown]
	v_add_co_u32_e32 v222, vcc, s29, v182
	v_addc_co_u32_e32 v223, vcc, 0, v183, vcc
	v_add_co_u32_e32 v226, vcc, s29, v180
	v_addc_co_u32_e32 v227, vcc, 0, v181, vcc
	global_load_ushort v239, v[222:223], off
	global_load_dword v240, v[226:227], off offset:2
	v_mul_u32_u24_sdwa v222, v228, s56 dst_sel:DWORD dst_unused:UNUSED_PAD src0_sel:WORD_0 src1_sel:DWORD
	v_mul_u32_u24_sdwa v236, v224, s56 dst_sel:DWORD dst_unused:UNUSED_PAD src0_sel:WORD_0 src1_sel:DWORD
	s_waitcnt vmcnt(7)
	v_mul_u32_u24_e32 v223, 0x10001, v244
	s_waitcnt vmcnt(6)
	v_pk_lshrrev_b16 v226, 8, v245 op_sel:[1,0] op_sel_hi:[0,0]
	v_lshrrev_b32_e32 v227, 16, v226
	v_cvt_f16_i16_sdwa v226, sext(v226) dst_sel:DWORD dst_unused:UNUSED_PAD src0_sel:BYTE_0
	v_cvt_f16_i16_sdwa v227, sext(v227) dst_sel:DWORD dst_unused:UNUSED_PAD src0_sel:BYTE_0
	v_pack_b32_f16 v226, v226, v227
	v_pk_lshrrev_b16 v227, 8, v245 op_sel:[1,1] op_sel_hi:[0,1]
	v_lshrrev_b32_e32 v241, 16, v227
	v_cvt_f16_i16_sdwa v227, sext(v227) dst_sel:DWORD dst_unused:UNUSED_PAD src0_sel:BYTE_0
	v_cvt_f16_i16_sdwa v241, sext(v241) dst_sel:DWORD dst_unused:UNUSED_PAD src0_sel:BYTE_0
	v_pack_b32_f16 v227, v227, v241
	v_pk_mul_f16 v226, v226, v223
	v_pk_mul_f16 v223, v227, v223
	v_pk_fma_f16 v233, v226, v222, v233
	v_pk_fma_f16 v235, v223, v222, v235
	v_pk_fma_f16 v234, v223, v236, v234
	v_pk_fma_f16 v231, v226, v236, v231
	v_mul_u32_u24_sdwa v224, v224, s56 dst_sel:DWORD dst_unused:UNUSED_PAD src0_sel:WORD_1 src1_sel:DWORD
	s_waitcnt vmcnt(5)
	v_mul_u32_u24_e32 v236, 0x10001, v237
	s_waitcnt vmcnt(4)
	v_pk_lshrrev_b16 v222, 8, v232 op_sel:[1,0] op_sel_hi:[0,0]
	v_lshrrev_b32_e32 v223, 16, v222
	v_cvt_f16_i16_sdwa v222, sext(v222) dst_sel:DWORD dst_unused:UNUSED_PAD src0_sel:BYTE_0
	v_cvt_f16_i16_sdwa v223, sext(v223) dst_sel:DWORD dst_unused:UNUSED_PAD src0_sel:BYTE_0
	v_pack_b32_f16 v222, v222, v223
	v_pk_mul_f16 v237, v222, v236
	v_add_co_u32_e32 v222, vcc, s29, v178
	v_addc_co_u32_e32 v223, vcc, 0, v179, vcc
	v_add_co_u32_e32 v226, vcc, s29, v176
	v_addc_co_u32_e32 v227, vcc, 0, v177, vcc
	global_load_ushort v242, v[222:223], off
	global_load_dword v243, v[226:227], off offset:2
	v_pk_lshrrev_b16 v232, 8, v232 op_sel:[1,1] op_sel_hi:[0,1]
	v_lshrrev_b32_e32 v241, 16, v232
	v_cvt_f16_i16_sdwa v222, sext(v232) dst_sel:DWORD dst_unused:UNUSED_PAD src0_sel:BYTE_0
	v_cvt_f16_i16_sdwa v223, sext(v241) dst_sel:DWORD dst_unused:UNUSED_PAD src0_sel:BYTE_0
	v_pack_b32_f16 v222, v222, v223
	v_mul_u32_u24_sdwa v228, v228, s56 dst_sel:DWORD dst_unused:UNUSED_PAD src0_sel:WORD_1 src1_sel:DWORD
	v_pk_mul_f16 v222, v222, v236
	v_pk_fma_f16 v231, v237, v224, v231
	v_pk_fma_f16 v232, v237, v228, v233
	;; [unrolled: 1-line block ×4, first 2 shown]
	v_mul_u32_u24_sdwa v233, v225, s56 dst_sel:DWORD dst_unused:UNUSED_PAD src0_sel:WORD_0 src1_sel:DWORD
	v_mul_u32_u24_sdwa v234, v229, s56 dst_sel:DWORD dst_unused:UNUSED_PAD src0_sel:WORD_0 src1_sel:DWORD
	v_mul_u32_u24_sdwa v229, v229, s56 dst_sel:DWORD dst_unused:UNUSED_PAD src0_sel:WORD_1 src1_sel:DWORD
	s_waitcnt vmcnt(5)
	v_mul_u32_u24_e32 v235, 0x10001, v238
	s_waitcnt vmcnt(4)
	v_pk_lshrrev_b16 v222, 8, v230 op_sel:[1,0] op_sel_hi:[0,0]
	v_lshrrev_b32_e32 v223, 16, v222
	v_cvt_f16_i16_sdwa v222, sext(v222) dst_sel:DWORD dst_unused:UNUSED_PAD src0_sel:BYTE_0
	v_cvt_f16_i16_sdwa v223, sext(v223) dst_sel:DWORD dst_unused:UNUSED_PAD src0_sel:BYTE_0
	v_pack_b32_f16 v222, v222, v223
	v_pk_mul_f16 v236, v222, v235
	v_add_co_u32_e32 v222, vcc, s29, v174
	v_addc_co_u32_e32 v223, vcc, 0, v175, vcc
	v_add_co_u32_e32 v226, vcc, s29, v172
	v_addc_co_u32_e32 v227, vcc, 0, v173, vcc
	global_load_ushort v238, v[222:223], off
	s_nop 0
	global_load_dword v226, v[226:227], off offset:2
	v_pk_lshrrev_b16 v230, 8, v230 op_sel:[1,1] op_sel_hi:[0,1]
	v_lshrrev_b32_e32 v237, 16, v230
	v_cvt_f16_i16_sdwa v222, sext(v230) dst_sel:DWORD dst_unused:UNUSED_PAD src0_sel:BYTE_0
	v_cvt_f16_i16_sdwa v223, sext(v237) dst_sel:DWORD dst_unused:UNUSED_PAD src0_sel:BYTE_0
	v_pack_b32_f16 v222, v222, v223
	v_pk_mul_f16 v222, v222, v235
	v_pk_fma_f16 v227, v236, v233, v231
	v_pk_fma_f16 v231, v222, v233, v224
	;; [unrolled: 1-line block ×4, first 2 shown]
	v_mul_u32_u24_sdwa v232, v225, s56 dst_sel:DWORD dst_unused:UNUSED_PAD src0_sel:WORD_1 src1_sel:DWORD
	s_waitcnt vmcnt(5)
	v_mul_u32_u24_e32 v233, 0x10001, v239
	s_waitcnt vmcnt(4)
	v_pk_lshrrev_b16 v222, 8, v240 op_sel:[1,0] op_sel_hi:[0,0]
	v_lshrrev_b32_e32 v223, 16, v222
	v_cvt_f16_i16_sdwa v222, sext(v222) dst_sel:DWORD dst_unused:UNUSED_PAD src0_sel:BYTE_0
	v_cvt_f16_i16_sdwa v223, sext(v223) dst_sel:DWORD dst_unused:UNUSED_PAD src0_sel:BYTE_0
	v_pack_b32_f16 v222, v222, v223
	v_pk_mul_f16 v234, v222, v233
	v_add_co_u32_e32 v222, vcc, s29, v170
	v_addc_co_u32_e32 v223, vcc, 0, v171, vcc
	v_add_co_u32_e32 v224, vcc, s29, v168
	v_pk_lshrrev_b16 v235, 8, v240 op_sel:[1,1] op_sel_hi:[0,1]
	v_addc_co_u32_e32 v225, vcc, 0, v169, vcc
	global_load_ushort v237, v[222:223], off
	global_load_dword v239, v[224:225], off offset:2
	v_lshrrev_b32_e32 v236, 16, v235
	v_cvt_f16_i16_sdwa v222, sext(v235) dst_sel:DWORD dst_unused:UNUSED_PAD src0_sel:BYTE_0
	v_cvt_f16_i16_sdwa v223, sext(v236) dst_sel:DWORD dst_unused:UNUSED_PAD src0_sel:BYTE_0
	v_pack_b32_f16 v222, v222, v223
	v_pk_mul_f16 v222, v222, v233
	v_pk_fma_f16 v231, v222, v232, v231
	v_pk_fma_f16 v228, v222, v229, v228
	v_add_co_u32_e32 v222, vcc, s29, v166
	v_addc_co_u32_e32 v223, vcc, 0, v167, vcc
	v_add_co_u32_e32 v224, vcc, s29, v164
	v_pk_fma_f16 v227, v234, v232, v227
	v_addc_co_u32_e32 v225, vcc, 0, v165, vcc
	global_load_ushort v232, v[222:223], off
	global_load_dword v233, v[224:225], off offset:2
	v_pk_fma_f16 v230, v234, v229, v230
	s_waitcnt lgkmcnt(0)
	v_mul_u32_u24_sdwa v222, v30, s56 dst_sel:DWORD dst_unused:UNUSED_PAD src0_sel:WORD_0 src1_sel:DWORD
	s_waitcnt vmcnt(7)
	v_mul_u32_u24_e32 v223, 0x10001, v242
	s_waitcnt vmcnt(6)
	v_pk_lshrrev_b16 v224, 8, v243 op_sel:[1,0] op_sel_hi:[0,0]
	v_lshrrev_b32_e32 v225, 16, v224
	v_cvt_f16_i16_sdwa v224, sext(v224) dst_sel:DWORD dst_unused:UNUSED_PAD src0_sel:BYTE_0
	v_cvt_f16_i16_sdwa v225, sext(v225) dst_sel:DWORD dst_unused:UNUSED_PAD src0_sel:BYTE_0
	v_pack_b32_f16 v224, v224, v225
	v_pk_lshrrev_b16 v225, 8, v243 op_sel:[1,1] op_sel_hi:[0,1]
	v_lshrrev_b32_e32 v234, 16, v225
	v_cvt_f16_i16_sdwa v225, sext(v225) dst_sel:DWORD dst_unused:UNUSED_PAD src0_sel:BYTE_0
	v_cvt_f16_i16_sdwa v234, sext(v234) dst_sel:DWORD dst_unused:UNUSED_PAD src0_sel:BYTE_0
	v_pack_b32_f16 v225, v225, v234
	v_pk_mul_f16 v224, v224, v223
	v_pk_mul_f16 v223, v225, v223
	v_mul_u32_u24_sdwa v229, v26, s56 dst_sel:DWORD dst_unused:UNUSED_PAD src0_sel:WORD_0 src1_sel:DWORD
	v_pk_fma_f16 v230, v224, v222, v230
	v_pk_fma_f16 v228, v223, v222, v228
	v_add_co_u32_e32 v222, vcc, s29, v162
	v_pk_fma_f16 v227, v224, v229, v227
	v_pk_fma_f16 v229, v223, v229, v231
	v_addc_co_u32_e32 v223, vcc, 0, v163, vcc
	v_add_co_u32_e32 v224, vcc, s29, v160
	v_addc_co_u32_e32 v225, vcc, 0, v161, vcc
	global_load_ushort v231, v[222:223], off
	global_load_dword v234, v[224:225], off offset:2
	v_mul_u32_u24_sdwa v26, v26, s56 dst_sel:DWORD dst_unused:UNUSED_PAD src0_sel:WORD_1 src1_sel:DWORD
	v_mul_u32_u24_sdwa v30, v30, s56 dst_sel:DWORD dst_unused:UNUSED_PAD src0_sel:WORD_1 src1_sel:DWORD
	s_waitcnt vmcnt(7)
	v_mul_u32_u24_e32 v222, 0x10001, v238
	s_waitcnt vmcnt(6)
	v_pk_lshrrev_b16 v223, 8, v226 op_sel:[1,0] op_sel_hi:[0,0]
	v_lshrrev_b32_e32 v224, 16, v223
	v_cvt_f16_i16_sdwa v223, sext(v223) dst_sel:DWORD dst_unused:UNUSED_PAD src0_sel:BYTE_0
	v_cvt_f16_i16_sdwa v224, sext(v224) dst_sel:DWORD dst_unused:UNUSED_PAD src0_sel:BYTE_0
	v_pack_b32_f16 v223, v223, v224
	v_pk_lshrrev_b16 v224, 8, v226 op_sel:[1,1] op_sel_hi:[0,1]
	v_lshrrev_b32_e32 v225, 16, v224
	v_cvt_f16_i16_sdwa v224, sext(v224) dst_sel:DWORD dst_unused:UNUSED_PAD src0_sel:BYTE_0
	v_cvt_f16_i16_sdwa v225, sext(v225) dst_sel:DWORD dst_unused:UNUSED_PAD src0_sel:BYTE_0
	v_pack_b32_f16 v224, v224, v225
	v_pk_mul_f16 v223, v223, v222
	v_pk_mul_f16 v222, v224, v222
	v_pk_fma_f16 v226, v223, v26, v227
	v_pk_fma_f16 v227, v223, v30, v230
	;; [unrolled: 1-line block ×4, first 2 shown]
	v_add_co_u32_e32 v222, vcc, s29, v158
	v_addc_co_u32_e32 v223, vcc, 0, v159, vcc
	v_add_co_u32_e32 v224, vcc, s29, v156
	v_addc_co_u32_e32 v225, vcc, 0, v157, vcc
	global_load_ushort v222, v[222:223], off
	s_nop 0
	global_load_dword v223, v[224:225], off offset:2
	v_mul_u32_u24_sdwa v228, v27, s56 dst_sel:DWORD dst_unused:UNUSED_PAD src0_sel:WORD_0 src1_sel:DWORD
	v_mul_u32_u24_sdwa v224, v31, s56 dst_sel:DWORD dst_unused:UNUSED_PAD src0_sel:WORD_0 src1_sel:DWORD
	v_mul_u32_u24_sdwa v31, v31, s56 dst_sel:DWORD dst_unused:UNUSED_PAD src0_sel:WORD_1 src1_sel:DWORD
	s_waitcnt vmcnt(7)
	v_mul_u32_u24_e32 v225, 0x10001, v237
	s_waitcnt vmcnt(6)
	v_pk_lshrrev_b16 v229, 8, v239 op_sel:[1,0] op_sel_hi:[0,0]
	v_lshrrev_b32_e32 v230, 16, v229
	v_cvt_f16_i16_sdwa v229, sext(v229) dst_sel:DWORD dst_unused:UNUSED_PAD src0_sel:BYTE_0
	v_cvt_f16_i16_sdwa v230, sext(v230) dst_sel:DWORD dst_unused:UNUSED_PAD src0_sel:BYTE_0
	v_pack_b32_f16 v229, v229, v230
	v_pk_lshrrev_b16 v230, 8, v239 op_sel:[1,1] op_sel_hi:[0,1]
	v_lshrrev_b32_e32 v235, 16, v230
	v_cvt_f16_i16_sdwa v230, sext(v230) dst_sel:DWORD dst_unused:UNUSED_PAD src0_sel:BYTE_0
	v_cvt_f16_i16_sdwa v235, sext(v235) dst_sel:DWORD dst_unused:UNUSED_PAD src0_sel:BYTE_0
	v_pack_b32_f16 v230, v230, v235
	v_pk_mul_f16 v229, v229, v225
	v_pk_mul_f16 v225, v230, v225
	v_pk_fma_f16 v226, v229, v228, v226
	v_pk_fma_f16 v227, v229, v224, v227
	;; [unrolled: 1-line block ×3, first 2 shown]
	v_add_co_u32_e32 v26, vcc, s29, v154
	s_waitcnt vmcnt(4)
	v_pk_lshrrev_b16 v229, 8, v233 op_sel:[1,0] op_sel_hi:[0,0]
	v_pk_fma_f16 v30, v225, v224, v30
	v_mul_u32_u24_sdwa v224, v27, s56 dst_sel:DWORD dst_unused:UNUSED_PAD src0_sel:WORD_1 src1_sel:DWORD
	v_lshrrev_b32_e32 v230, 16, v229
	v_addc_co_u32_e32 v27, vcc, 0, v155, vcc
	v_mul_u32_u24_e32 v225, 0x10001, v232
	global_load_ushort v232, v[26:27], off
	v_cvt_f16_i16_sdwa v26, sext(v229) dst_sel:DWORD dst_unused:UNUSED_PAD src0_sel:BYTE_0
	v_cvt_f16_i16_sdwa v27, sext(v230) dst_sel:DWORD dst_unused:UNUSED_PAD src0_sel:BYTE_0
	v_pack_b32_f16 v26, v26, v27
	v_pk_mul_f16 v229, v26, v225
	v_add_co_u32_e32 v26, vcc, s29, v152
	v_addc_co_u32_e32 v27, vcc, 0, v153, vcc
	global_load_dword v235, v[26:27], off offset:2
	v_pk_lshrrev_b16 v230, 8, v233 op_sel:[1,1] op_sel_hi:[0,1]
	v_lshrrev_b32_e32 v233, 16, v230
	v_cvt_f16_i16_sdwa v26, sext(v230) dst_sel:DWORD dst_unused:UNUSED_PAD src0_sel:BYTE_0
	v_cvt_f16_i16_sdwa v27, sext(v233) dst_sel:DWORD dst_unused:UNUSED_PAD src0_sel:BYTE_0
	v_pack_b32_f16 v26, v26, v27
	v_pk_mul_f16 v26, v26, v225
	v_pk_fma_f16 v225, v229, v224, v226
	v_pk_fma_f16 v226, v229, v31, v227
	;; [unrolled: 1-line block ×4, first 2 shown]
	v_add_co_u32_e32 v26, vcc, s29, v150
	s_waitcnt vmcnt(4)
	v_pk_lshrrev_b16 v229, 8, v234 op_sel:[1,0] op_sel_hi:[0,0]
	v_lshrrev_b32_e32 v230, 16, v229
	v_addc_co_u32_e32 v27, vcc, 0, v151, vcc
	v_mul_u32_u24_e32 v228, 0x10001, v231
	global_load_ushort v231, v[26:27], off
	v_cvt_f16_i16_sdwa v26, sext(v229) dst_sel:DWORD dst_unused:UNUSED_PAD src0_sel:BYTE_0
	v_cvt_f16_i16_sdwa v27, sext(v230) dst_sel:DWORD dst_unused:UNUSED_PAD src0_sel:BYTE_0
	v_pack_b32_f16 v26, v26, v27
	v_pk_mul_f16 v229, v26, v228
	v_add_co_u32_e32 v26, vcc, s29, v148
	v_addc_co_u32_e32 v27, vcc, 0, v149, vcc
	v_pk_lshrrev_b16 v230, 8, v234 op_sel:[1,1] op_sel_hi:[0,1]
	global_load_dword v234, v[26:27], off offset:2
	v_lshrrev_b32_e32 v233, 16, v230
	v_cvt_f16_i16_sdwa v26, sext(v230) dst_sel:DWORD dst_unused:UNUSED_PAD src0_sel:BYTE_0
	v_cvt_f16_i16_sdwa v27, sext(v233) dst_sel:DWORD dst_unused:UNUSED_PAD src0_sel:BYTE_0
	v_pack_b32_f16 v26, v26, v27
	v_mul_u32_u24_sdwa v31, v28, s56 dst_sel:DWORD dst_unused:UNUSED_PAD src0_sel:WORD_0 src1_sel:DWORD
	v_mul_u32_u24_sdwa v227, v32, s56 dst_sel:DWORD dst_unused:UNUSED_PAD src0_sel:WORD_0 src1_sel:DWORD
	v_pk_mul_f16 v26, v26, v228
	v_pk_fma_f16 v226, v229, v227, v226
	v_pk_fma_f16 v224, v26, v31, v224
	;; [unrolled: 1-line block ×4, first 2 shown]
	v_mul_u32_u24_sdwa v28, v28, s56 dst_sel:DWORD dst_unused:UNUSED_PAD src0_sel:WORD_1 src1_sel:DWORD
	s_waitcnt vmcnt(5)
	v_mul_u32_u24_e32 v222, 0x10001, v222
	s_waitcnt vmcnt(4)
	v_pk_lshrrev_b16 v26, 8, v223 op_sel:[1,0] op_sel_hi:[0,0]
	v_lshrrev_b32_e32 v27, 16, v26
	v_cvt_f16_i16_sdwa v26, sext(v26) dst_sel:DWORD dst_unused:UNUSED_PAD src0_sel:BYTE_0
	v_cvt_f16_i16_sdwa v27, sext(v27) dst_sel:DWORD dst_unused:UNUSED_PAD src0_sel:BYTE_0
	v_pack_b32_f16 v26, v26, v27
	v_pk_mul_f16 v228, v26, v222
	v_pk_lshrrev_b16 v26, 8, v223 op_sel:[1,1] op_sel_hi:[0,1]
	v_lshrrev_b32_e32 v27, 16, v26
	v_cvt_f16_i16_sdwa v223, sext(v26) dst_sel:DWORD dst_unused:UNUSED_PAD src0_sel:BYTE_0
	v_add_co_u32_e32 v26, vcc, s29, v146
	v_cvt_f16_i16_sdwa v229, sext(v27) dst_sel:DWORD dst_unused:UNUSED_PAD src0_sel:BYTE_0
	v_addc_co_u32_e32 v27, vcc, 0, v147, vcc
	v_add_co_u32_e32 v30, vcc, s29, v144
	v_addc_co_u32_e32 v31, vcc, 0, v145, vcc
	global_load_ushort v230, v[26:27], off
	global_load_dword v233, v[30:31], off offset:2
	v_pack_b32_f16 v26, v223, v229
	v_mul_u32_u24_sdwa v32, v32, s56 dst_sel:DWORD dst_unused:UNUSED_PAD src0_sel:WORD_1 src1_sel:DWORD
	v_pk_mul_f16 v26, v26, v222
	v_pk_fma_f16 v222, v228, v28, v225
	v_pk_fma_f16 v223, v228, v32, v226
	;; [unrolled: 1-line block ×4, first 2 shown]
	v_add_co_u32_e32 v26, vcc, s29, v142
	v_addc_co_u32_e32 v27, vcc, 0, v143, vcc
	v_add_co_u32_e32 v30, vcc, s29, v140
	v_addc_co_u32_e32 v31, vcc, 0, v141, vcc
	global_load_ushort v227, v[26:27], off
	global_load_dword v228, v[30:31], off offset:2
	s_waitcnt vmcnt(7)
	v_mul_u32_u24_e32 v226, 0x10001, v232
	v_mul_u32_u24_sdwa v224, v29, s56 dst_sel:DWORD dst_unused:UNUSED_PAD src0_sel:WORD_0 src1_sel:DWORD
	v_mul_u32_u24_sdwa v225, v33, s56 dst_sel:DWORD dst_unused:UNUSED_PAD src0_sel:WORD_0 src1_sel:DWORD
	s_waitcnt vmcnt(6)
	v_pk_lshrrev_b16 v26, 8, v235 op_sel:[1,0] op_sel_hi:[0,0]
	v_lshrrev_b32_e32 v27, 16, v26
	v_cvt_f16_i16_sdwa v26, sext(v26) dst_sel:DWORD dst_unused:UNUSED_PAD src0_sel:BYTE_0
	v_cvt_f16_i16_sdwa v27, sext(v27) dst_sel:DWORD dst_unused:UNUSED_PAD src0_sel:BYTE_0
	v_pack_b32_f16 v26, v26, v27
	v_pk_lshrrev_b16 v27, 8, v235 op_sel:[1,1] op_sel_hi:[0,1]
	v_lshrrev_b32_e32 v30, 16, v27
	v_cvt_f16_i16_sdwa v27, sext(v27) dst_sel:DWORD dst_unused:UNUSED_PAD src0_sel:BYTE_0
	v_cvt_f16_i16_sdwa v30, sext(v30) dst_sel:DWORD dst_unused:UNUSED_PAD src0_sel:BYTE_0
	v_pk_mul_f16 v26, v26, v226
	v_pack_b32_f16 v27, v27, v30
	v_pk_mul_f16 v27, v27, v226
	v_pk_fma_f16 v30, v26, v224, v222
	v_pk_fma_f16 v31, v26, v225, v223
	v_add_co_u32_e32 v26, vcc, s29, v138
	v_pk_fma_f16 v222, v27, v224, v28
	v_pk_fma_f16 v32, v27, v225, v32
	v_addc_co_u32_e32 v27, vcc, 0, v139, vcc
	v_add_co_u32_e32 v28, vcc, s29, v136
	v_mul_u32_u24_sdwa v223, v29, s56 dst_sel:DWORD dst_unused:UNUSED_PAD src0_sel:WORD_1 src1_sel:DWORD
	v_addc_co_u32_e32 v29, vcc, 0, v137, vcc
	global_load_ushort v226, v[26:27], off
	global_load_dword v229, v[28:29], off offset:2
	s_waitcnt vmcnt(7)
	v_mul_u32_u24_e32 v224, 0x10001, v231
	v_mul_u32_u24_sdwa v33, v33, s56 dst_sel:DWORD dst_unused:UNUSED_PAD src0_sel:WORD_1 src1_sel:DWORD
	s_waitcnt vmcnt(6)
	v_pk_lshrrev_b16 v26, 8, v234 op_sel:[1,0] op_sel_hi:[0,0]
	v_lshrrev_b32_e32 v27, 16, v26
	v_cvt_f16_i16_sdwa v26, sext(v26) dst_sel:DWORD dst_unused:UNUSED_PAD src0_sel:BYTE_0
	v_cvt_f16_i16_sdwa v27, sext(v27) dst_sel:DWORD dst_unused:UNUSED_PAD src0_sel:BYTE_0
	v_pack_b32_f16 v26, v26, v27
	v_pk_lshrrev_b16 v27, 8, v234 op_sel:[1,1] op_sel_hi:[0,1]
	v_lshrrev_b32_e32 v28, 16, v27
	v_cvt_f16_i16_sdwa v27, sext(v27) dst_sel:DWORD dst_unused:UNUSED_PAD src0_sel:BYTE_0
	v_cvt_f16_i16_sdwa v28, sext(v28) dst_sel:DWORD dst_unused:UNUSED_PAD src0_sel:BYTE_0
	v_pk_mul_f16 v26, v26, v224
	v_pack_b32_f16 v27, v27, v28
	v_pk_mul_f16 v27, v27, v224
	v_pk_fma_f16 v224, v26, v223, v30
	v_pk_fma_f16 v225, v26, v33, v31
	v_add_co_u32_e32 v26, vcc, s29, v134
	v_pk_fma_f16 v222, v27, v223, v222
	v_pk_fma_f16 v223, v27, v33, v32
	v_addc_co_u32_e32 v27, vcc, 0, v135, vcc
	v_add_co_u32_e32 v28, vcc, s29, v132
	ds_read_b128 v[30:33], v211 offset:288
	v_addc_co_u32_e32 v29, vcc, 0, v133, vcc
	global_load_ushort v232, v[26:27], off
	global_load_dword v234, v[28:29], off offset:2
	v_mul_u32_u24_sdwa v231, v22, s56 dst_sel:DWORD dst_unused:UNUSED_PAD src0_sel:WORD_0 src1_sel:DWORD
	s_waitcnt lgkmcnt(0)
	v_mul_u32_u24_sdwa v235, v30, s56 dst_sel:DWORD dst_unused:UNUSED_PAD src0_sel:WORD_0 src1_sel:DWORD
	ds_read_b128 v[26:29], v211 offset:304
	v_mul_u32_u24_sdwa v22, v22, s56 dst_sel:DWORD dst_unused:UNUSED_PAD src0_sel:WORD_1 src1_sel:DWORD
	v_mul_u32_u24_sdwa v30, v30, s56 dst_sel:DWORD dst_unused:UNUSED_PAD src0_sel:WORD_1 src1_sel:DWORD
	s_waitcnt vmcnt(7)
	v_mul_u32_u24_e32 v230, 0x10001, v230
	s_waitcnt vmcnt(6)
	v_pk_lshrrev_b16 v236, 8, v233 op_sel:[1,0] op_sel_hi:[0,0]
	v_lshrrev_b32_e32 v237, 16, v236
	v_cvt_f16_i16_sdwa v236, sext(v236) dst_sel:DWORD dst_unused:UNUSED_PAD src0_sel:BYTE_0
	v_cvt_f16_i16_sdwa v237, sext(v237) dst_sel:DWORD dst_unused:UNUSED_PAD src0_sel:BYTE_0
	v_pk_lshrrev_b16 v233, 8, v233 op_sel:[1,1] op_sel_hi:[0,1]
	v_pack_b32_f16 v236, v236, v237
	v_lshrrev_b32_e32 v237, 16, v233
	v_cvt_f16_i16_sdwa v233, sext(v233) dst_sel:DWORD dst_unused:UNUSED_PAD src0_sel:BYTE_0
	v_cvt_f16_i16_sdwa v237, sext(v237) dst_sel:DWORD dst_unused:UNUSED_PAD src0_sel:BYTE_0
	v_pack_b32_f16 v233, v233, v237
	v_pk_mul_f16 v236, v236, v230
	v_pk_mul_f16 v230, v233, v230
	v_pk_fma_f16 v233, v236, v231, v224
	v_pk_fma_f16 v231, v230, v231, v222
	;; [unrolled: 1-line block ×3, first 2 shown]
	s_waitcnt vmcnt(5)
	v_mul_u32_u24_e32 v227, 0x10001, v227
	s_waitcnt vmcnt(4)
	v_pk_lshrrev_b16 v222, 8, v228 op_sel:[1,0] op_sel_hi:[0,0]
	v_lshrrev_b32_e32 v223, 16, v222
	v_cvt_f16_i16_sdwa v222, sext(v222) dst_sel:DWORD dst_unused:UNUSED_PAD src0_sel:BYTE_0
	v_cvt_f16_i16_sdwa v223, sext(v223) dst_sel:DWORD dst_unused:UNUSED_PAD src0_sel:BYTE_0
	v_pack_b32_f16 v222, v222, v223
	v_pk_fma_f16 v236, v236, v235, v225
	v_pk_mul_f16 v235, v222, v227
	v_add_co_u32_e32 v222, vcc, s29, v130
	v_addc_co_u32_e32 v223, vcc, 0, v131, vcc
	v_pk_lshrrev_b16 v228, 8, v228 op_sel:[1,1] op_sel_hi:[0,1]
	v_add_co_u32_e32 v224, vcc, s29, v128
	v_lshrrev_b32_e32 v237, 16, v228
	v_addc_co_u32_e32 v225, vcc, 0, v129, vcc
	global_load_ushort v238, v[222:223], off
	global_load_dword v239, v[224:225], off offset:2
	v_cvt_f16_i16_sdwa v222, sext(v228) dst_sel:DWORD dst_unused:UNUSED_PAD src0_sel:BYTE_0
	v_cvt_f16_i16_sdwa v223, sext(v237) dst_sel:DWORD dst_unused:UNUSED_PAD src0_sel:BYTE_0
	v_pack_b32_f16 v222, v222, v223
	v_pk_mul_f16 v222, v222, v227
	v_pk_fma_f16 v227, v235, v22, v233
	v_pk_fma_f16 v228, v235, v30, v236
	;; [unrolled: 1-line block ×4, first 2 shown]
	v_mul_u32_u24_sdwa v230, v23, s56 dst_sel:DWORD dst_unused:UNUSED_PAD src0_sel:WORD_0 src1_sel:DWORD
	v_mul_u32_u24_sdwa v231, v31, s56 dst_sel:DWORD dst_unused:UNUSED_PAD src0_sel:WORD_0 src1_sel:DWORD
	s_waitcnt vmcnt(5)
	v_mul_u32_u24_e32 v226, 0x10001, v226
	s_waitcnt vmcnt(4)
	v_pk_lshrrev_b16 v222, 8, v229 op_sel:[1,0] op_sel_hi:[0,0]
	v_lshrrev_b32_e32 v223, 16, v222
	v_cvt_f16_i16_sdwa v222, sext(v222) dst_sel:DWORD dst_unused:UNUSED_PAD src0_sel:BYTE_0
	v_cvt_f16_i16_sdwa v223, sext(v223) dst_sel:DWORD dst_unused:UNUSED_PAD src0_sel:BYTE_0
	v_pack_b32_f16 v222, v222, v223
	v_pk_mul_f16 v233, v222, v226
	v_add_co_u32_e32 v222, vcc, s29, v126
	v_addc_co_u32_e32 v223, vcc, 0, v127, vcc
	v_add_co_u32_e32 v224, vcc, s29, v124
	v_pk_lshrrev_b16 v229, 8, v229 op_sel:[1,1] op_sel_hi:[0,1]
	v_addc_co_u32_e32 v225, vcc, 0, v125, vcc
	global_load_ushort v222, v[222:223], off
	s_nop 0
	global_load_dword v223, v[224:225], off offset:2
	v_lshrrev_b32_e32 v235, 16, v229
	v_cvt_f16_i16_sdwa v224, sext(v229) dst_sel:DWORD dst_unused:UNUSED_PAD src0_sel:BYTE_0
	v_cvt_f16_i16_sdwa v225, sext(v235) dst_sel:DWORD dst_unused:UNUSED_PAD src0_sel:BYTE_0
	v_pack_b32_f16 v224, v224, v225
	v_pk_mul_f16 v224, v224, v226
	v_pk_fma_f16 v225, v233, v230, v227
	v_pk_fma_f16 v227, v224, v230, v22
	;; [unrolled: 1-line block ×3, first 2 shown]
	v_mul_u32_u24_sdwa v228, v23, s56 dst_sel:DWORD dst_unused:UNUSED_PAD src0_sel:WORD_1 src1_sel:DWORD
	v_pk_fma_f16 v224, v224, v231, v30
	v_mul_u32_u24_sdwa v229, v31, s56 dst_sel:DWORD dst_unused:UNUSED_PAD src0_sel:WORD_1 src1_sel:DWORD
	s_waitcnt vmcnt(5)
	v_mul_u32_u24_e32 v230, 0x10001, v232
	s_waitcnt vmcnt(4)
	v_pk_lshrrev_b16 v22, 8, v234 op_sel:[1,0] op_sel_hi:[0,0]
	v_lshrrev_b32_e32 v23, 16, v22
	v_cvt_f16_i16_sdwa v22, sext(v22) dst_sel:DWORD dst_unused:UNUSED_PAD src0_sel:BYTE_0
	v_cvt_f16_i16_sdwa v23, sext(v23) dst_sel:DWORD dst_unused:UNUSED_PAD src0_sel:BYTE_0
	v_pack_b32_f16 v22, v22, v23
	v_pk_mul_f16 v231, v22, v230
	v_add_co_u32_e32 v22, vcc, s29, v122
	v_addc_co_u32_e32 v23, vcc, 0, v123, vcc
	v_add_co_u32_e32 v30, vcc, s29, v120
	v_pk_lshrrev_b16 v232, 8, v234 op_sel:[1,1] op_sel_hi:[0,1]
	v_addc_co_u32_e32 v31, vcc, 0, v121, vcc
	global_load_ushort v234, v[22:23], off
	global_load_dword v235, v[30:31], off offset:2
	v_lshrrev_b32_e32 v233, 16, v232
	v_cvt_f16_i16_sdwa v22, sext(v232) dst_sel:DWORD dst_unused:UNUSED_PAD src0_sel:BYTE_0
	v_cvt_f16_i16_sdwa v23, sext(v233) dst_sel:DWORD dst_unused:UNUSED_PAD src0_sel:BYTE_0
	v_pack_b32_f16 v22, v22, v23
	v_pk_mul_f16 v22, v22, v230
	v_pk_fma_f16 v227, v22, v228, v227
	v_pk_fma_f16 v224, v22, v229, v224
	v_add_co_u32_e32 v22, vcc, s29, v118
	v_addc_co_u32_e32 v23, vcc, 0, v119, vcc
	v_add_co_u32_e32 v30, vcc, s29, v115
	v_pk_fma_f16 v226, v231, v229, v226
	v_addc_co_u32_e32 v31, vcc, 0, v116, vcc
	global_load_ushort v229, v[22:23], off
	global_load_dword v230, v[30:31], off offset:2
	v_pk_fma_f16 v225, v231, v228, v225
	v_mul_u32_u24_sdwa v22, v32, s56 dst_sel:DWORD dst_unused:UNUSED_PAD src0_sel:WORD_0 src1_sel:DWORD
	v_mul_u32_u24_sdwa v228, v24, s56 dst_sel:DWORD dst_unused:UNUSED_PAD src0_sel:WORD_0 src1_sel:DWORD
	v_mul_u32_u24_sdwa v24, v24, s56 dst_sel:DWORD dst_unused:UNUSED_PAD src0_sel:WORD_1 src1_sel:DWORD
	s_waitcnt vmcnt(7)
	v_mul_u32_u24_e32 v23, 0x10001, v238
	s_waitcnt vmcnt(6)
	v_pk_lshrrev_b16 v30, 8, v239 op_sel:[1,0] op_sel_hi:[0,0]
	v_lshrrev_b32_e32 v31, 16, v30
	v_cvt_f16_i16_sdwa v30, sext(v30) dst_sel:DWORD dst_unused:UNUSED_PAD src0_sel:BYTE_0
	v_cvt_f16_i16_sdwa v31, sext(v31) dst_sel:DWORD dst_unused:UNUSED_PAD src0_sel:BYTE_0
	v_pack_b32_f16 v30, v30, v31
	v_pk_lshrrev_b16 v31, 8, v239 op_sel:[1,1] op_sel_hi:[0,1]
	v_lshrrev_b32_e32 v231, 16, v31
	v_cvt_f16_i16_sdwa v31, sext(v31) dst_sel:DWORD dst_unused:UNUSED_PAD src0_sel:BYTE_0
	v_cvt_f16_i16_sdwa v231, sext(v231) dst_sel:DWORD dst_unused:UNUSED_PAD src0_sel:BYTE_0
	v_pack_b32_f16 v31, v31, v231
	v_pk_mul_f16 v30, v30, v23
	v_pk_mul_f16 v23, v31, v23
	v_pk_fma_f16 v226, v30, v22, v226
	v_pk_fma_f16 v224, v23, v22, v224
	v_add_co_u32_e32 v22, vcc, s29, v113
	v_pk_fma_f16 v227, v23, v228, v227
	v_addc_co_u32_e32 v23, vcc, 0, v114, vcc
	v_pk_fma_f16 v225, v30, v228, v225
	v_add_co_u32_e32 v30, vcc, s29, v111
	v_addc_co_u32_e32 v31, vcc, 0, v112, vcc
	global_load_ushort v228, v[22:23], off
	global_load_dword v231, v[30:31], off offset:2
	v_mul_u32_u24_sdwa v22, v32, s56 dst_sel:DWORD dst_unused:UNUSED_PAD src0_sel:WORD_1 src1_sel:DWORD
	s_waitcnt vmcnt(7)
	v_mul_u32_u24_e32 v23, 0x10001, v222
	s_waitcnt vmcnt(6)
	v_pk_lshrrev_b16 v30, 8, v223 op_sel:[1,0] op_sel_hi:[0,0]
	v_lshrrev_b32_e32 v31, 16, v30
	v_cvt_f16_i16_sdwa v30, sext(v30) dst_sel:DWORD dst_unused:UNUSED_PAD src0_sel:BYTE_0
	v_cvt_f16_i16_sdwa v31, sext(v31) dst_sel:DWORD dst_unused:UNUSED_PAD src0_sel:BYTE_0
	v_pack_b32_f16 v30, v30, v31
	v_pk_lshrrev_b16 v31, 8, v223 op_sel:[1,1] op_sel_hi:[0,1]
	v_lshrrev_b32_e32 v32, 16, v31
	v_cvt_f16_i16_sdwa v31, sext(v31) dst_sel:DWORD dst_unused:UNUSED_PAD src0_sel:BYTE_0
	v_cvt_f16_i16_sdwa v32, sext(v32) dst_sel:DWORD dst_unused:UNUSED_PAD src0_sel:BYTE_0
	v_pack_b32_f16 v31, v31, v32
	v_pk_mul_f16 v30, v30, v23
	v_pk_mul_f16 v23, v31, v23
	v_pk_fma_f16 v222, v30, v22, v226
	v_pk_fma_f16 v223, v23, v22, v224
	v_add_co_u32_e32 v22, vcc, s29, v109
	v_pk_fma_f16 v32, v30, v24, v225
	v_pk_fma_f16 v24, v23, v24, v227
	v_addc_co_u32_e32 v23, vcc, 0, v110, vcc
	v_add_co_u32_e32 v30, vcc, s29, v107
	v_addc_co_u32_e32 v31, vcc, 0, v108, vcc
	global_load_ushort v225, v[22:23], off
	s_nop 0
	global_load_dword v30, v[30:31], off offset:2
	v_mul_u32_u24_sdwa v224, v25, s56 dst_sel:DWORD dst_unused:UNUSED_PAD src0_sel:WORD_0 src1_sel:DWORD
	v_mul_u32_u24_sdwa v22, v33, s56 dst_sel:DWORD dst_unused:UNUSED_PAD src0_sel:WORD_0 src1_sel:DWORD
	s_waitcnt vmcnt(7)
	v_mul_u32_u24_e32 v23, 0x10001, v234
	s_waitcnt vmcnt(6)
	v_pk_lshrrev_b16 v31, 8, v235 op_sel:[1,0] op_sel_hi:[0,0]
	v_lshrrev_b32_e32 v226, 16, v31
	v_cvt_f16_i16_sdwa v31, sext(v31) dst_sel:DWORD dst_unused:UNUSED_PAD src0_sel:BYTE_0
	v_cvt_f16_i16_sdwa v226, sext(v226) dst_sel:DWORD dst_unused:UNUSED_PAD src0_sel:BYTE_0
	v_pack_b32_f16 v31, v31, v226
	v_pk_lshrrev_b16 v226, 8, v235 op_sel:[1,1] op_sel_hi:[0,1]
	v_lshrrev_b32_e32 v227, 16, v226
	v_cvt_f16_i16_sdwa v226, sext(v226) dst_sel:DWORD dst_unused:UNUSED_PAD src0_sel:BYTE_0
	v_cvt_f16_i16_sdwa v227, sext(v227) dst_sel:DWORD dst_unused:UNUSED_PAD src0_sel:BYTE_0
	v_pack_b32_f16 v226, v226, v227
	v_pk_mul_f16 v31, v31, v23
	v_pk_mul_f16 v23, v226, v23
	v_pk_fma_f16 v32, v31, v224, v32
	v_pk_fma_f16 v31, v31, v22, v222
	;; [unrolled: 1-line block ×4, first 2 shown]
	s_waitcnt vmcnt(5)
	v_mul_u32_u24_e32 v226, 0x10001, v229
	s_waitcnt vmcnt(4)
	v_pk_lshrrev_b16 v22, 8, v230 op_sel:[1,0] op_sel_hi:[0,0]
	v_lshrrev_b32_e32 v23, 16, v22
	v_cvt_f16_i16_sdwa v22, sext(v22) dst_sel:DWORD dst_unused:UNUSED_PAD src0_sel:BYTE_0
	v_cvt_f16_i16_sdwa v23, sext(v23) dst_sel:DWORD dst_unused:UNUSED_PAD src0_sel:BYTE_0
	v_pack_b32_f16 v22, v22, v23
	v_pk_mul_f16 v227, v22, v226
	v_add_co_u32_e32 v22, vcc, s29, v105
	v_addc_co_u32_e32 v23, vcc, 0, v106, vcc
	v_add_co_u32_e32 v24, vcc, s29, v103
	v_mul_u32_u24_sdwa v224, v25, s56 dst_sel:DWORD dst_unused:UNUSED_PAD src0_sel:WORD_1 src1_sel:DWORD
	v_addc_co_u32_e32 v25, vcc, 0, v104, vcc
	global_load_ushort v232, v[22:23], off
	global_load_dword v233, v[24:25], off offset:2
	v_pk_lshrrev_b16 v229, 8, v230 op_sel:[1,1] op_sel_hi:[0,1]
	v_lshrrev_b32_e32 v230, 16, v229
	v_cvt_f16_i16_sdwa v22, sext(v229) dst_sel:DWORD dst_unused:UNUSED_PAD src0_sel:BYTE_0
	v_cvt_f16_i16_sdwa v23, sext(v230) dst_sel:DWORD dst_unused:UNUSED_PAD src0_sel:BYTE_0
	v_pack_b32_f16 v22, v22, v23
	v_pk_mul_f16 v22, v22, v226
	v_mul_u32_u24_sdwa v33, v33, s56 dst_sel:DWORD dst_unused:UNUSED_PAD src0_sel:WORD_1 src1_sel:DWORD
	v_pk_fma_f16 v25, v22, v224, v222
	v_pk_fma_f16 v22, v22, v33, v223
	;; [unrolled: 1-line block ×4, first 2 shown]
	v_mul_u32_u24_sdwa v31, v18, s56 dst_sel:DWORD dst_unused:UNUSED_PAD src0_sel:WORD_0 src1_sel:DWORD
	s_waitcnt lgkmcnt(0)
	v_mul_u32_u24_sdwa v32, v26, s56 dst_sel:DWORD dst_unused:UNUSED_PAD src0_sel:WORD_0 src1_sel:DWORD
	v_mul_u32_u24_sdwa v18, v18, s56 dst_sel:DWORD dst_unused:UNUSED_PAD src0_sel:WORD_1 src1_sel:DWORD
	v_mul_u32_u24_sdwa v26, v26, s56 dst_sel:DWORD dst_unused:UNUSED_PAD src0_sel:WORD_1 src1_sel:DWORD
	s_waitcnt vmcnt(5)
	v_mul_u32_u24_e32 v33, 0x10001, v228
	s_waitcnt vmcnt(4)
	v_pk_lshrrev_b16 v222, 8, v231 op_sel:[1,0] op_sel_hi:[0,0]
	v_lshrrev_b32_e32 v223, 16, v222
	v_cvt_f16_i16_sdwa v222, sext(v222) dst_sel:DWORD dst_unused:UNUSED_PAD src0_sel:BYTE_0
	v_cvt_f16_i16_sdwa v223, sext(v223) dst_sel:DWORD dst_unused:UNUSED_PAD src0_sel:BYTE_0
	v_pack_b32_f16 v222, v222, v223
	v_pk_lshrrev_b16 v223, 8, v231 op_sel:[1,1] op_sel_hi:[0,1]
	v_lshrrev_b32_e32 v224, 16, v223
	v_cvt_f16_i16_sdwa v223, sext(v223) dst_sel:DWORD dst_unused:UNUSED_PAD src0_sel:BYTE_0
	v_cvt_f16_i16_sdwa v224, sext(v224) dst_sel:DWORD dst_unused:UNUSED_PAD src0_sel:BYTE_0
	v_pack_b32_f16 v223, v223, v224
	v_pk_mul_f16 v222, v222, v33
	v_pk_mul_f16 v33, v223, v33
	v_pk_fma_f16 v223, v222, v31, v23
	v_pk_fma_f16 v222, v222, v32, v24
	;; [unrolled: 1-line block ×3, first 2 shown]
	v_add_co_u32_e32 v22, vcc, s29, v101
	v_addc_co_u32_e32 v23, vcc, 0, v102, vcc
	v_add_co_u32_e32 v24, vcc, s29, v98
	v_pk_fma_f16 v31, v33, v31, v25
	v_addc_co_u32_e32 v25, vcc, 0, v99, vcc
	global_load_ushort v33, v[22:23], off
	global_load_dword v224, v[24:25], off offset:2
	s_waitcnt vmcnt(5)
	v_mul_u32_u24_e32 v225, 0x10001, v225
	s_waitcnt vmcnt(4)
	v_pk_lshrrev_b16 v22, 8, v30 op_sel:[1,0] op_sel_hi:[0,0]
	v_lshrrev_b32_e32 v23, 16, v22
	v_cvt_f16_i16_sdwa v22, sext(v22) dst_sel:DWORD dst_unused:UNUSED_PAD src0_sel:BYTE_0
	v_cvt_f16_i16_sdwa v23, sext(v23) dst_sel:DWORD dst_unused:UNUSED_PAD src0_sel:BYTE_0
	v_pack_b32_f16 v22, v22, v23
	v_pk_mul_f16 v226, v22, v225
	v_add_co_u32_e32 v22, vcc, s29, v96
	v_addc_co_u32_e32 v23, vcc, 0, v97, vcc
	v_add_co_u32_e32 v24, vcc, s29, v94
	v_pk_lshrrev_b16 v30, 8, v30 op_sel:[1,1] op_sel_hi:[0,1]
	v_addc_co_u32_e32 v25, vcc, 0, v95, vcc
	global_load_ushort v228, v[22:23], off
	global_load_dword v229, v[24:25], off offset:2
	v_lshrrev_b32_e32 v227, 16, v30
	v_cvt_f16_i16_sdwa v22, sext(v30) dst_sel:DWORD dst_unused:UNUSED_PAD src0_sel:BYTE_0
	v_cvt_f16_i16_sdwa v23, sext(v227) dst_sel:DWORD dst_unused:UNUSED_PAD src0_sel:BYTE_0
	v_pack_b32_f16 v22, v22, v23
	v_pk_mul_f16 v22, v22, v225
	v_pk_fma_f16 v30, v226, v18, v223
	v_pk_fma_f16 v222, v226, v26, v222
	;; [unrolled: 1-line block ×4, first 2 shown]
	v_add_co_u32_e32 v22, vcc, s29, v92
	v_addc_co_u32_e32 v23, vcc, 0, v93, vcc
	v_add_co_u32_e32 v24, vcc, s29, v90
	v_addc_co_u32_e32 v25, vcc, 0, v91, vcc
	global_load_ushort v32, v[22:23], off
	global_load_dword v223, v[24:25], off offset:2
	v_mul_u32_u24_sdwa v31, v19, s56 dst_sel:DWORD dst_unused:UNUSED_PAD src0_sel:WORD_0 src1_sel:DWORD
	s_waitcnt vmcnt(7)
	v_mul_u32_u24_e32 v226, 0x10001, v232
	s_waitcnt vmcnt(6)
	v_pk_lshrrev_b16 v22, 8, v233 op_sel:[1,0] op_sel_hi:[0,0]
	v_lshrrev_b32_e32 v23, 16, v22
	v_cvt_f16_i16_sdwa v22, sext(v22) dst_sel:DWORD dst_unused:UNUSED_PAD src0_sel:BYTE_0
	v_cvt_f16_i16_sdwa v23, sext(v23) dst_sel:DWORD dst_unused:UNUSED_PAD src0_sel:BYTE_0
	v_pack_b32_f16 v22, v22, v23
	v_pk_mul_f16 v227, v22, v226
	v_add_co_u32_e32 v22, vcc, s29, v88
	v_addc_co_u32_e32 v23, vcc, 0, v89, vcc
	v_add_co_u32_e32 v24, vcc, s29, v86
	v_pk_lshrrev_b16 v230, 8, v233 op_sel:[1,1] op_sel_hi:[0,1]
	v_addc_co_u32_e32 v25, vcc, 0, v87, vcc
	global_load_ushort v231, v[22:23], off
	global_load_dword v232, v[24:25], off offset:2
	v_lshrrev_b32_e32 v22, 16, v230
	v_cvt_f16_i16_sdwa v23, sext(v230) dst_sel:DWORD dst_unused:UNUSED_PAD src0_sel:BYTE_0
	v_cvt_f16_i16_sdwa v22, sext(v22) dst_sel:DWORD dst_unused:UNUSED_PAD src0_sel:BYTE_0
	v_pack_b32_f16 v22, v23, v22
	v_mul_u32_u24_sdwa v225, v27, s56 dst_sel:DWORD dst_unused:UNUSED_PAD src0_sel:WORD_0 src1_sel:DWORD
	v_pk_mul_f16 v22, v22, v226
	v_pk_fma_f16 v18, v22, v31, v18
	v_pk_fma_f16 v26, v22, v225, v26
	v_add_co_u32_e32 v22, vcc, s29, v84
	v_addc_co_u32_e32 v23, vcc, 0, v85, vcc
	v_add_co_u32_e32 v24, vcc, s29, v82
	v_addc_co_u32_e32 v25, vcc, 0, v83, vcc
	global_load_ushort v22, v[22:23], off
	s_nop 0
	global_load_dword v23, v[24:25], off offset:2
	v_mul_u32_u24_sdwa v24, v27, s56 dst_sel:DWORD dst_unused:UNUSED_PAD src0_sel:WORD_1 src1_sel:DWORD
	v_pk_fma_f16 v30, v227, v31, v30
	v_pk_fma_f16 v222, v227, v225, v222
	v_mul_u32_u24_sdwa v19, v19, s56 dst_sel:DWORD dst_unused:UNUSED_PAD src0_sel:WORD_1 src1_sel:DWORD
	v_add_co_u32_e32 v58, vcc, s40, v58
	v_addc_co_u32_e32 v59, vcc, 0, v59, vcc
	s_waitcnt vmcnt(8)
	v_pk_lshrrev_b16 v27, 8, v224 op_sel:[1,0] op_sel_hi:[0,0]
	v_lshrrev_b32_e32 v31, 16, v27
	v_cvt_f16_i16_sdwa v27, sext(v27) dst_sel:DWORD dst_unused:UNUSED_PAD src0_sel:BYTE_0
	v_cvt_f16_i16_sdwa v31, sext(v31) dst_sel:DWORD dst_unused:UNUSED_PAD src0_sel:BYTE_0
	v_pack_b32_f16 v27, v27, v31
	v_pk_lshrrev_b16 v31, 8, v224 op_sel:[1,1] op_sel_hi:[0,1]
	v_mul_u32_u24_e32 v25, 0x10001, v33
	v_lshrrev_b32_e32 v33, 16, v31
	v_cvt_f16_i16_sdwa v31, sext(v31) dst_sel:DWORD dst_unused:UNUSED_PAD src0_sel:BYTE_0
	v_cvt_f16_i16_sdwa v33, sext(v33) dst_sel:DWORD dst_unused:UNUSED_PAD src0_sel:BYTE_0
	v_pack_b32_f16 v31, v31, v33
	v_pk_mul_f16 v27, v27, v25
	v_pk_mul_f16 v25, v31, v25
	v_pk_fma_f16 v30, v27, v19, v30
	v_pk_fma_f16 v27, v27, v24, v222
	;; [unrolled: 1-line block ×4, first 2 shown]
	s_waitcnt vmcnt(7)
	v_mul_u32_u24_e32 v26, 0x10001, v228
	s_waitcnt vmcnt(6)
	v_pk_lshrrev_b16 v31, 8, v229 op_sel:[1,0] op_sel_hi:[0,0]
	v_lshrrev_b32_e32 v33, 16, v31
	v_cvt_f16_i16_sdwa v31, sext(v31) dst_sel:DWORD dst_unused:UNUSED_PAD src0_sel:BYTE_0
	v_cvt_f16_i16_sdwa v33, sext(v33) dst_sel:DWORD dst_unused:UNUSED_PAD src0_sel:BYTE_0
	v_pack_b32_f16 v31, v31, v33
	v_pk_lshrrev_b16 v33, 8, v229 op_sel:[1,1] op_sel_hi:[0,1]
	v_lshrrev_b32_e32 v222, 16, v33
	v_cvt_f16_i16_sdwa v33, sext(v33) dst_sel:DWORD dst_unused:UNUSED_PAD src0_sel:BYTE_0
	v_cvt_f16_i16_sdwa v222, sext(v222) dst_sel:DWORD dst_unused:UNUSED_PAD src0_sel:BYTE_0
	v_pack_b32_f16 v33, v33, v222
	v_mul_u32_u24_sdwa v24, v20, s56 dst_sel:DWORD dst_unused:UNUSED_PAD src0_sel:WORD_0 src1_sel:DWORD
	v_mul_u32_u24_sdwa v25, v28, s56 dst_sel:DWORD dst_unused:UNUSED_PAD src0_sel:WORD_0 src1_sel:DWORD
	v_pk_mul_f16 v31, v31, v26
	v_pk_mul_f16 v26, v33, v26
	v_pk_fma_f16 v18, v26, v24, v18
	v_pk_fma_f16 v19, v26, v25, v19
	;; [unrolled: 1-line block ×3, first 2 shown]
	v_mul_u32_u24_sdwa v24, v28, s56 dst_sel:DWORD dst_unused:UNUSED_PAD src0_sel:WORD_1 src1_sel:DWORD
	s_waitcnt vmcnt(4)
	v_pk_lshrrev_b16 v26, 8, v223 op_sel:[1,0] op_sel_hi:[0,0]
	v_lshrrev_b32_e32 v28, 16, v26
	v_cvt_f16_i16_sdwa v26, sext(v26) dst_sel:DWORD dst_unused:UNUSED_PAD src0_sel:BYTE_0
	v_cvt_f16_i16_sdwa v28, sext(v28) dst_sel:DWORD dst_unused:UNUSED_PAD src0_sel:BYTE_0
	v_pack_b32_f16 v26, v26, v28
	v_pk_lshrrev_b16 v28, 8, v223 op_sel:[1,1] op_sel_hi:[0,1]
	v_pk_fma_f16 v27, v31, v25, v27
	v_lshrrev_b32_e32 v31, 16, v28
	v_mul_u32_u24_e32 v25, 0x10001, v32
	v_cvt_f16_i16_sdwa v28, sext(v28) dst_sel:DWORD dst_unused:UNUSED_PAD src0_sel:BYTE_0
	v_cvt_f16_i16_sdwa v31, sext(v31) dst_sel:DWORD dst_unused:UNUSED_PAD src0_sel:BYTE_0
	v_mul_u32_u24_sdwa v20, v20, s56 dst_sel:DWORD dst_unused:UNUSED_PAD src0_sel:WORD_1 src1_sel:DWORD
	v_pk_mul_f16 v26, v26, v25
	v_pack_b32_f16 v28, v28, v31
	v_pk_mul_f16 v25, v28, v25
	v_pk_fma_f16 v28, v26, v20, v30
	v_pk_fma_f16 v26, v26, v24, v27
	;; [unrolled: 1-line block ×3, first 2 shown]
	s_waitcnt vmcnt(2)
	v_pk_lshrrev_b16 v27, 8, v232 op_sel:[1,0] op_sel_hi:[0,0]
	v_lshrrev_b32_e32 v30, 16, v27
	v_cvt_f16_i16_sdwa v27, sext(v27) dst_sel:DWORD dst_unused:UNUSED_PAD src0_sel:BYTE_0
	v_cvt_f16_i16_sdwa v30, sext(v30) dst_sel:DWORD dst_unused:UNUSED_PAD src0_sel:BYTE_0
	v_pack_b32_f16 v27, v27, v30
	v_pk_lshrrev_b16 v30, 8, v232 op_sel:[1,1] op_sel_hi:[0,1]
	v_lshrrev_b32_e32 v31, 16, v30
	v_cvt_f16_i16_sdwa v30, sext(v30) dst_sel:DWORD dst_unused:UNUSED_PAD src0_sel:BYTE_0
	v_cvt_f16_i16_sdwa v31, sext(v31) dst_sel:DWORD dst_unused:UNUSED_PAD src0_sel:BYTE_0
	v_pk_fma_f16 v19, v25, v24, v19
	v_mul_u32_u24_e32 v25, 0x10001, v231
	v_pack_b32_f16 v30, v30, v31
	v_mul_u32_u24_sdwa v24, v29, s56 dst_sel:DWORD dst_unused:UNUSED_PAD src0_sel:WORD_0 src1_sel:DWORD
	v_pk_mul_f16 v27, v27, v25
	v_pk_mul_f16 v25, v30, v25
	v_mul_u32_u24_sdwa v20, v21, s56 dst_sel:DWORD dst_unused:UNUSED_PAD src0_sel:WORD_0 src1_sel:DWORD
	v_pk_fma_f16 v26, v27, v24, v26
	v_pk_fma_f16 v19, v25, v24, v19
	v_mul_u32_u24_sdwa v24, v21, s56 dst_sel:DWORD dst_unused:UNUSED_PAD src0_sel:WORD_1 src1_sel:DWORD
	s_waitcnt vmcnt(0)
	v_pk_lshrrev_b16 v21, 8, v23 op_sel:[1,0] op_sel_hi:[0,0]
	v_pk_fma_f16 v28, v27, v20, v28
	v_pk_fma_f16 v20, v25, v20, v18
	v_mul_u32_u24_e32 v18, 0x10001, v22
	v_lshrrev_b32_e32 v22, 16, v21
	v_cvt_f16_i16_sdwa v21, sext(v21) dst_sel:DWORD dst_unused:UNUSED_PAD src0_sel:BYTE_0
	v_cvt_f16_i16_sdwa v22, sext(v22) dst_sel:DWORD dst_unused:UNUSED_PAD src0_sel:BYTE_0
	v_pack_b32_f16 v21, v21, v22
	v_pk_mul_f16 v22, v21, v18
	v_pk_lshrrev_b16 v21, 8, v23 op_sel:[1,1] op_sel_hi:[0,1]
	v_lshrrev_b32_e32 v23, 16, v21
	v_cvt_f16_i16_sdwa v21, sext(v21) dst_sel:DWORD dst_unused:UNUSED_PAD src0_sel:BYTE_0
	v_cvt_f16_i16_sdwa v23, sext(v23) dst_sel:DWORD dst_unused:UNUSED_PAD src0_sel:BYTE_0
	v_mul_u32_u24_sdwa v25, v29, s56 dst_sel:DWORD dst_unused:UNUSED_PAD src0_sel:WORD_1 src1_sel:DWORD
	v_pack_b32_f16 v21, v21, v23
	v_pk_mul_f16 v23, v21, v18
	v_pk_fma_f16 v21, v22, v24, v28
	v_pk_fma_f16 v18, v22, v25, v26
	v_mov_b32_e32 v22, s47
	v_add_co_u32_e32 v60, vcc, s46, v60
	v_addc_co_u32_e32 v61, vcc, v61, v22, vcc
	v_add_co_u32_e32 v212, vcc, s46, v212
	v_addc_co_u32_e32 v213, vcc, v213, v22, vcc
	v_add_co_u32_e32 v62, vcc, s40, v62
	v_addc_co_u32_e32 v63, vcc, 0, v63, vcc
	v_add_co_u32_e32 v64, vcc, s40, v64
	v_addc_co_u32_e32 v65, vcc, 0, v65, vcc
	v_add_co_u32_e32 v66, vcc, s46, v66
	v_addc_co_u32_e32 v67, vcc, v67, v22, vcc
	v_add_co_u32_e32 v68, vcc, s40, v68
	v_addc_co_u32_e32 v69, vcc, 0, v69, vcc
	v_add_co_u32_e32 v70, vcc, s40, v70
	v_addc_co_u32_e32 v71, vcc, 0, v71, vcc
	v_add_co_u32_e32 v72, vcc, s41, v72
	v_addc_co_u32_e32 v73, vcc, 0, v73, vcc
	v_add_co_u32_e32 v74, vcc, s40, v74
	v_addc_co_u32_e32 v75, vcc, 0, v75, vcc
	v_add_co_u32_e32 v76, vcc, s40, v76
	v_addc_co_u32_e32 v77, vcc, 0, v77, vcc
	v_add_co_u32_e32 v78, vcc, s41, v78
	v_addc_co_u32_e32 v79, vcc, 0, v79, vcc
	v_add_co_u32_e32 v80, vcc, s41, v80
	v_addc_co_u32_e32 v81, vcc, 0, v81, vcc
	v_add_co_u32_e32 v214, vcc, s40, v214
	v_addc_co_u32_e32 v215, vcc, 0, v215, vcc
	v_add_co_u32_e32 v82, vcc, s41, v82
	v_addc_co_u32_e32 v83, vcc, 0, v83, vcc
	v_add_co_u32_e32 v84, vcc, s41, v84
	v_addc_co_u32_e32 v85, vcc, 0, v85, vcc
	v_add_co_u32_e32 v86, vcc, s41, v86
	v_addc_co_u32_e32 v87, vcc, 0, v87, vcc
	v_add_co_u32_e32 v88, vcc, s41, v88
	v_addc_co_u32_e32 v89, vcc, 0, v89, vcc
	v_add_co_u32_e32 v90, vcc, s41, v90
	v_addc_co_u32_e32 v91, vcc, 0, v91, vcc
	v_add_co_u32_e32 v92, vcc, s41, v92
	v_addc_co_u32_e32 v93, vcc, 0, v93, vcc
	v_add_co_u32_e32 v94, vcc, s41, v94
	v_addc_co_u32_e32 v95, vcc, 0, v95, vcc
	v_add_co_u32_e32 v96, vcc, s41, v96
	v_addc_co_u32_e32 v97, vcc, 0, v97, vcc
	v_add_co_u32_e32 v98, vcc, s41, v98
	v_addc_co_u32_e32 v99, vcc, 0, v99, vcc
	v_add_co_u32_e32 v101, vcc, s41, v101
	v_addc_co_u32_e32 v102, vcc, 0, v102, vcc
	v_add_co_u32_e32 v103, vcc, s41, v103
	v_addc_co_u32_e32 v104, vcc, 0, v104, vcc
	v_add_co_u32_e32 v105, vcc, s41, v105
	v_addc_co_u32_e32 v106, vcc, 0, v106, vcc
	v_add_co_u32_e32 v107, vcc, s41, v107
	v_addc_co_u32_e32 v108, vcc, 0, v108, vcc
	v_add_co_u32_e32 v109, vcc, s41, v109
	v_addc_co_u32_e32 v110, vcc, 0, v110, vcc
	v_add_co_u32_e32 v111, vcc, s41, v111
	v_addc_co_u32_e32 v112, vcc, 0, v112, vcc
	v_add_co_u32_e32 v113, vcc, s41, v113
	v_addc_co_u32_e32 v114, vcc, 0, v114, vcc
	v_add_co_u32_e32 v115, vcc, s41, v115
	v_addc_co_u32_e32 v116, vcc, 0, v116, vcc
	v_add_co_u32_e32 v118, vcc, s41, v118
	v_addc_co_u32_e32 v119, vcc, 0, v119, vcc
	v_add_co_u32_e32 v120, vcc, s41, v120
	v_addc_co_u32_e32 v121, vcc, 0, v121, vcc
	v_add_co_u32_e32 v122, vcc, s41, v122
	v_addc_co_u32_e32 v123, vcc, 0, v123, vcc
	v_add_co_u32_e32 v124, vcc, s41, v124
	v_addc_co_u32_e32 v125, vcc, 0, v125, vcc
	v_add_co_u32_e32 v126, vcc, s41, v126
	v_addc_co_u32_e32 v127, vcc, 0, v127, vcc
	v_add_co_u32_e32 v128, vcc, s41, v128
	v_addc_co_u32_e32 v129, vcc, 0, v129, vcc
	v_add_co_u32_e32 v130, vcc, s41, v130
	v_addc_co_u32_e32 v131, vcc, 0, v131, vcc
	v_add_co_u32_e32 v132, vcc, s41, v132
	v_addc_co_u32_e32 v133, vcc, 0, v133, vcc
	v_add_co_u32_e32 v134, vcc, s41, v134
	v_addc_co_u32_e32 v135, vcc, 0, v135, vcc
	v_add_co_u32_e32 v136, vcc, s41, v136
	v_addc_co_u32_e32 v137, vcc, 0, v137, vcc
	v_add_co_u32_e32 v138, vcc, s41, v138
	v_addc_co_u32_e32 v139, vcc, 0, v139, vcc
	v_add_co_u32_e32 v140, vcc, s41, v140
	v_addc_co_u32_e32 v141, vcc, 0, v141, vcc
	v_add_co_u32_e32 v142, vcc, s41, v142
	v_addc_co_u32_e32 v143, vcc, 0, v143, vcc
	v_add_co_u32_e32 v144, vcc, s41, v144
	v_addc_co_u32_e32 v145, vcc, 0, v145, vcc
	v_add_co_u32_e32 v146, vcc, s41, v146
	v_addc_co_u32_e32 v147, vcc, 0, v147, vcc
	v_add_co_u32_e32 v148, vcc, s41, v148
	v_addc_co_u32_e32 v149, vcc, 0, v149, vcc
	v_add_co_u32_e32 v150, vcc, s41, v150
	v_addc_co_u32_e32 v151, vcc, 0, v151, vcc
	v_add_co_u32_e32 v152, vcc, s41, v152
	v_addc_co_u32_e32 v153, vcc, 0, v153, vcc
	v_add_co_u32_e32 v154, vcc, s41, v154
	v_addc_co_u32_e32 v155, vcc, 0, v155, vcc
	v_add_co_u32_e32 v156, vcc, s41, v156
	v_addc_co_u32_e32 v157, vcc, 0, v157, vcc
	v_add_co_u32_e32 v158, vcc, s41, v158
	v_addc_co_u32_e32 v159, vcc, 0, v159, vcc
	v_add_co_u32_e32 v160, vcc, s41, v160
	v_addc_co_u32_e32 v161, vcc, 0, v161, vcc
	v_add_co_u32_e32 v162, vcc, s41, v162
	v_addc_co_u32_e32 v163, vcc, 0, v163, vcc
	v_add_co_u32_e32 v164, vcc, s41, v164
	v_addc_co_u32_e32 v165, vcc, 0, v165, vcc
	v_add_co_u32_e32 v166, vcc, s41, v166
	v_addc_co_u32_e32 v167, vcc, 0, v167, vcc
	v_add_co_u32_e32 v168, vcc, s41, v168
	v_addc_co_u32_e32 v169, vcc, 0, v169, vcc
	v_add_co_u32_e32 v170, vcc, s41, v170
	v_addc_co_u32_e32 v171, vcc, 0, v171, vcc
	v_add_co_u32_e32 v172, vcc, s41, v172
	v_addc_co_u32_e32 v173, vcc, 0, v173, vcc
	v_add_co_u32_e32 v174, vcc, s41, v174
	v_addc_co_u32_e32 v175, vcc, 0, v175, vcc
	v_add_co_u32_e32 v176, vcc, s41, v176
	v_addc_co_u32_e32 v177, vcc, 0, v177, vcc
	v_add_co_u32_e32 v178, vcc, s41, v178
	v_addc_co_u32_e32 v179, vcc, 0, v179, vcc
	v_add_co_u32_e32 v180, vcc, s41, v180
	v_addc_co_u32_e32 v181, vcc, 0, v181, vcc
	v_add_co_u32_e32 v182, vcc, s41, v182
	v_addc_co_u32_e32 v183, vcc, 0, v183, vcc
	v_add_co_u32_e32 v184, vcc, s41, v184
	v_addc_co_u32_e32 v185, vcc, 0, v185, vcc
	v_add_co_u32_e32 v186, vcc, s41, v186
	v_addc_co_u32_e32 v187, vcc, 0, v187, vcc
	v_add_co_u32_e32 v188, vcc, s41, v188
	v_addc_co_u32_e32 v189, vcc, 0, v189, vcc
	v_add_co_u32_e32 v190, vcc, s41, v190
	v_addc_co_u32_e32 v191, vcc, 0, v191, vcc
	v_add_co_u32_e32 v192, vcc, s41, v192
	v_addc_co_u32_e32 v193, vcc, 0, v193, vcc
	v_add_co_u32_e32 v194, vcc, s41, v194
	v_addc_co_u32_e32 v195, vcc, 0, v195, vcc
	v_add_co_u32_e32 v196, vcc, s41, v196
	v_addc_co_u32_e32 v197, vcc, 0, v197, vcc
	v_add_co_u32_e32 v198, vcc, s41, v198
	v_addc_co_u32_e32 v199, vcc, 0, v199, vcc
	v_add_co_u32_e32 v200, vcc, s41, v200
	v_addc_co_u32_e32 v201, vcc, 0, v201, vcc
	v_add_co_u32_e32 v202, vcc, s41, v202
	v_addc_co_u32_e32 v203, vcc, 0, v203, vcc
	v_add_co_u32_e32 v204, vcc, s41, v204
	v_pk_fma_f16 v20, v23, v24, v20
	v_pk_fma_f16 v19, v23, v25, v19
	v_addc_co_u32_e32 v205, vcc, 0, v205, vcc
	s_cbranch_scc1 .LBB22_68
; %bb.66:                               ;   in Loop: Header=BB22_17 Depth=1
	v_mov_b32_e32 v23, v50
	v_mov_b32_e32 v22, v51
	s_branch .LBB22_17
.LBB22_67:
	v_mov_b32_e32 v50, 0xfeffffff
	v_mov_b32_e32 v100, 0
	;; [unrolled: 1-line block ×4, first 2 shown]
	s_branch .LBB22_69
.LBB22_68:
	buffer_store_dword v21, off, s[0:3], 0
	buffer_store_dword v20, off, s[0:3], 0 offset:4
	buffer_store_dword v18, off, s[0:3], 0 offset:8
	buffer_store_dword v19, off, s[0:3], 0 offset:12
.LBB22_69:
	s_cmp_eq_u64 s[44:45], 0
	s_cselect_b64 s[8:9], -1, 0
	s_cmp_lg_u32 s7, 0
	s_cselect_b64 s[10:11], -1, 0
	s_or_b64 s[8:9], s[10:11], s[8:9]
	s_nor_b64 s[8:9], s[8:9], s[20:21]
	s_and_saveexec_b64 s[12:13], s[8:9]
	s_cbranch_execz .LBB22_71
; %bb.70:
	v_mov_b32_e32 v2, 0
	v_lshl_add_u32 v2, v1, 3, v2
	buffer_load_dword v3, v2, s[0:3], 0 offen
	buffer_load_dword v4, v2, s[0:3], 0 offen offset:4
	s_ashr_i32 s25, s24, 31
	s_lshl_b64 s[8:9], s[24:25], 2
	s_add_u32 s8, s44, s8
	s_addc_u32 s9, s45, s9
	s_load_dword s8, s[8:9], 0x0
	v_cmp_eq_u32_e32 vcc, 1, v1
	v_cndmask_b32_e32 v5, v50, v51, vcc
	v_max_f32_e32 v7, v5, v5
	s_mov_b32 s6, 0x3fb8aa3b
	s_waitcnt lgkmcnt(0)
	v_max_f32_e64 v9, s8, s8
	v_max_f32_e32 v7, v9, v7
	v_sub_f32_e32 v5, v5, v7
	v_sub_f32_e32 v9, s8, v7
	v_mul_f32_e32 v10, 0x3fb8aa3b, v5
	v_mul_f32_e32 v11, 0x3fb8aa3b, v9
	v_fma_f32 v12, v5, s6, -v10
	v_rndne_f32_e32 v13, v10
	v_fma_f32 v14, v9, s6, -v11
	v_rndne_f32_e32 v15, v11
	v_fmac_f32_e32 v12, 0x32a5705f, v5
	v_sub_f32_e32 v10, v10, v13
	v_fmac_f32_e32 v14, 0x32a5705f, v9
	v_sub_f32_e32 v11, v11, v15
	v_add_f32_e32 v10, v10, v12
	v_cvt_i32_f32_e32 v13, v13
	v_add_f32_e32 v11, v11, v14
	v_exp_f32_e32 v10, v10
	v_cvt_i32_f32_e32 v15, v15
	v_exp_f32_e32 v11, v11
	s_mov_b32 s14, 0xc2ce8ed0
	v_cmp_eq_u32_e64 s[8:9], 0, v1
	v_cndmask_b32_e32 v51, v51, v7, vcc
	v_cndmask_b32_e64 v50, v50, v7, s[8:9]
	v_ldexp_f32 v7, v10, v13
	v_cmp_ngt_f32_e64 s[10:11], s14, v5
	s_mov_b32 s15, 0x42b17218
	v_ldexp_f32 v10, v11, v15
	v_cndmask_b32_e64 v7, 0, v7, s[10:11]
	v_cmp_ngt_f32_e64 s[10:11], s14, v9
	v_mov_b32_e32 v6, 0x7f800000
	v_cndmask_b32_e64 v10, 0, v10, s[10:11]
	v_cmp_nlt_f32_e64 s[10:11], s15, v5
	v_cndmask_b32_e64 v5, v6, v7, s[10:11]
	v_cvt_f16_f32_e32 v7, v5
	v_cmp_nlt_f32_e64 s[10:11], s15, v9
	v_cndmask_b32_e64 v6, v6, v10, s[10:11]
	v_cmp_eq_u32_e64 s[10:11], 0, v0
	v_cndmask_b32_e32 v8, v100, v117, vcc
	v_cndmask_b32_e64 v6, 0, v6, s[10:11]
	v_fmac_f32_e32 v6, v8, v5
	v_mul_u32_u24_e32 v5, 0x10001, v7
	v_cndmask_b32_e32 v117, v117, v6, vcc
	v_cndmask_b32_e64 v100, v100, v6, s[8:9]
	s_waitcnt vmcnt(1)
	v_pk_mul_f16 v3, v3, v5
	s_waitcnt vmcnt(0)
	v_pk_mul_f16 v4, v4, v5
	buffer_store_dword v3, v2, s[0:3], 0 offen
	buffer_store_dword v4, v2, s[0:3], 0 offen offset:4
.LBB22_71:
	s_or_b64 exec, exec, s[12:13]
	v_cmp_eq_u32_e32 vcc, 0, v1
	v_add_u32_e32 v4, 0x500, v54
	v_or_b32_e32 v10, 0x400, v54
	s_and_saveexec_b64 s[8:9], vcc
	s_cbranch_execz .LBB22_73
; %bb.72:
	v_mov_b32_e32 v2, 0xfeffffff
	v_mov_b32_e32 v3, 0
	ds_write2_b32 v10, v2, v2 offset1:32
	ds_write2_b32 v4, v3, v3 offset1:32
.LBB22_73:
	s_or_b64 exec, exec, s[8:9]
	v_cmp_eq_u32_e64 s[8:9], 0, v0
	s_waitcnt vmcnt(0) lgkmcnt(0)
	s_barrier
	s_and_saveexec_b64 s[10:11], s[8:9]
; %bb.74:
	v_lshlrev_b32_e32 v2, 2, v1
	v_add_u32_e32 v2, 0x400, v2
	ds_write2_b32 v2, v50, v51 offset1:32
; %bb.75:
	s_or_b64 exec, exec, s[10:11]
	s_cmp_lt_i32 s26, s22
	s_waitcnt lgkmcnt(0)
	s_barrier
	s_cbranch_scc1 .LBB22_77
; %bb.76:
	s_load_dword s6, s[4:5], 0xd4
	s_mul_i32 s33, s33, s22
	s_cbranch_execz .LBB22_78
	s_branch .LBB22_85
.LBB22_77:
                                        ; implicit-def: $sgpr6
	s_mul_i32 s33, s33, s22
.LBB22_78:
	v_mbcnt_hi_u32_b32 v2, -1, v57
	v_and_b32_e32 v3, 0x60, v2
	ds_read_b32 v7, v10
	v_add_u32_e32 v3, 32, v3
	v_xor_b32_e32 v5, 16, v2
	buffer_load_dword v13, off, s[0:3], 0
	buffer_load_dword v14, off, s[0:3], 0 offset:4
	v_cmp_lt_i32_e32 vcc, v5, v3
	v_cndmask_b32_e32 v5, v2, v5, vcc
	v_lshlrev_b32_e32 v5, 2, v5
	s_waitcnt lgkmcnt(0)
	ds_bpermute_b32 v8, v5, v7
	v_xor_b32_e32 v6, 8, v2
	v_cmp_lt_i32_e32 vcc, v6, v3
	v_cndmask_b32_e32 v6, v2, v6, vcc
	v_max_f32_e32 v7, v7, v7
	s_waitcnt lgkmcnt(0)
	v_max_f32_e32 v8, v8, v8
	v_lshlrev_b32_e32 v6, 2, v6
	v_max_f32_e32 v8, v7, v8
	ds_bpermute_b32 v9, v6, v8
	v_xor_b32_e32 v7, 4, v2
	v_cmp_lt_i32_e32 vcc, v7, v3
	v_cndmask_b32_e32 v7, v2, v7, vcc
	v_lshlrev_b32_e32 v7, 2, v7
	s_waitcnt lgkmcnt(0)
	v_max_f32_e32 v9, v9, v9
	v_max_f32_e32 v9, v8, v9
	ds_bpermute_b32 v11, v7, v9
	v_xor_b32_e32 v8, 2, v2
	v_cmp_lt_i32_e32 vcc, v8, v3
	v_cndmask_b32_e32 v8, v2, v8, vcc
	v_lshlrev_b32_e32 v8, 2, v8
	s_waitcnt lgkmcnt(0)
	v_max_f32_e32 v11, v11, v11
	;; [unrolled: 8-line block ×3, first 2 shown]
	v_max_f32_e32 v2, v11, v2
	ds_bpermute_b32 v3, v9, v2
	s_mov_b32 s6, 0x3fb8aa3b
	v_lshlrev_b32_e32 v16, 3, v0
	s_waitcnt lgkmcnt(0)
	v_max_f32_e32 v3, v3, v3
	v_max_f32_e32 v2, v2, v3
	v_sub_f32_e32 v3, v50, v2
	v_mul_f32_e32 v11, 0x3fb8aa3b, v3
	v_fma_f32 v12, v3, s6, -v11
	v_rndne_f32_e32 v15, v11
	v_fmac_f32_e32 v12, 0x32a5705f, v3
	v_sub_f32_e32 v11, v11, v15
	v_add_f32_e32 v11, v11, v12
	v_exp_f32_e32 v11, v11
	v_cvt_i32_f32_e32 v12, v15
	s_mov_b32 s6, 0xc2ce8ed0
	v_cmp_ngt_f32_e32 vcc, s6, v3
	s_mov_b32 s6, 0x42b17218
	v_ldexp_f32 v11, v11, v12
	v_cndmask_b32_e32 v11, 0, v11, vcc
	v_mov_b32_e32 v12, 0x7f800000
	v_cmp_nlt_f32_e32 vcc, s6, v3
	v_cndmask_b32_e32 v3, v12, v11, vcc
	v_mul_f32_e32 v11, v100, v3
	ds_bpermute_b32 v11, v5, v11
	v_mov_b32_e32 v15, 0x500
	v_lshl_add_u32 v1, v1, 2, v15
	s_load_dword s6, s[4:5], 0xd4
	s_waitcnt lgkmcnt(0)
	v_fmac_f32_e32 v11, v100, v3
	ds_bpermute_b32 v12, v6, v11
	v_cvt_f16_f32_e32 v3, v3
	s_waitcnt lgkmcnt(0)
	v_add_f32_e32 v11, v11, v12
	ds_bpermute_b32 v12, v7, v11
	v_mul_u32_u24_e32 v15, 0x10001, v3
	s_waitcnt lgkmcnt(0)
	v_add_f32_e32 v12, v11, v12
	ds_bpermute_b32 v17, v8, v12
	v_add_u32_e32 v11, v52, v16
	s_waitcnt vmcnt(1)
	v_pk_mul_f16 v13, v13, v15
	s_waitcnt vmcnt(0)
	v_pk_mul_f16 v14, v14, v15
	s_waitcnt lgkmcnt(0)
	v_add_f32_e32 v3, v12, v17
	ds_bpermute_b32 v12, v9, v3
	buffer_store_dword v13, off, s[0:3], 0
	buffer_store_dword v14, off, s[0:3], 0 offset:4
	ds_write_b64 v11, v[13:14]
	s_and_saveexec_b64 s[4:5], s[8:9]
	s_cbranch_execz .LBB22_80
; %bb.79:
	s_waitcnt lgkmcnt(1)
	v_add_f32_e32 v3, v3, v12
	ds_write_b32 v1, v3
.LBB22_80:
	s_or_b64 exec, exec, s[4:5]
	s_waitcnt vmcnt(0) lgkmcnt(0)
	s_barrier
	ds_read_b32 v3, v4
	ds_read_u16 v12, v55
	ds_read_u16 v13, v55 offset:256
	ds_read_u16 v14, v55 offset:512
	;; [unrolled: 1-line block ×3, first 2 shown]
	s_waitcnt lgkmcnt(4)
	ds_bpermute_b32 v16, v5, v3
	s_waitcnt lgkmcnt(4)
	v_cvt_f32_f16_e32 v12, v12
	s_waitcnt lgkmcnt(3)
	v_cvt_f32_f16_e32 v13, v13
	;; [unrolled: 2-line block ×4, first 2 shown]
	s_waitcnt lgkmcnt(0)
	v_add_f32_e32 v3, v3, v16
	ds_bpermute_b32 v16, v6, v3
	v_add_f32_e32 v12, 0, v12
	v_add_f32_e32 v12, v12, v13
	;; [unrolled: 1-line block ×4, first 2 shown]
	s_waitcnt lgkmcnt(0)
	v_add_f32_e32 v3, v3, v16
	ds_bpermute_b32 v16, v7, v3
	s_cmp_eq_u32 s6, 1
	s_waitcnt lgkmcnt(0)
	v_add_f32_e32 v3, v3, v16
	ds_bpermute_b32 v16, v8, v3
	s_waitcnt lgkmcnt(0)
	v_add_f32_e32 v3, v3, v16
	ds_bpermute_b32 v16, v9, v3
	s_waitcnt lgkmcnt(0)
	v_add_f32_e32 v100, v3, v16
	v_div_scale_f32 v3, s[4:5], v100, v100, v12
	v_div_scale_f32 v13, vcc, v12, v100, v12
	s_cselect_b64 s[4:5], -1, 0
	s_add_i32 s10, s26, s33
	s_mul_i32 s12, s10, s23
	s_add_i32 s12, s12, s24
	s_mul_i32 s10, s6, s12
	s_add_i32 s10, s10, s7
	s_or_b32 s11, s26, 1
	s_cmp_ge_i32 s11, s22
	v_rcp_f32_e32 v14, v3
	v_fma_f32 v15, -v3, v14, 1.0
	v_fmac_f32_e32 v14, v15, v14
	v_mul_f32_e32 v15, v13, v14
	v_fma_f32 v16, -v3, v15, v13
	v_fmac_f32_e32 v15, v16, v14
	v_fma_f32 v3, -v3, v15, v13
	v_div_fmas_f32 v14, v3, v14, v15
	v_mov_b32_e32 v13, 0
	v_mov_b32_e32 v15, s49
	;; [unrolled: 1-line block ×3, first 2 shown]
	v_div_fixup_f32 v14, v14, v100, v12
	v_cndmask_b32_e64 v14, v12, v14, s[4:5]
	v_lshl_or_b32 v12, s10, 7, v53
	v_lshlrev_b64 v[12:13], 2, v[12:13]
	v_add_co_u32_e32 v12, vcc, s48, v12
	v_addc_co_u32_e32 v13, vcc, v15, v13, vcc
	global_store_dword v[12:13], v14, off
	s_waitcnt vmcnt(0)
	s_barrier
	s_cbranch_scc1 .LBB22_84
; %bb.81:
	ds_read_b32 v3, v10 offset:128
	buffer_load_dword v13, off, s[0:3], 0 offset:8
	buffer_load_dword v14, off, s[0:3], 0 offset:12
	s_mov_b32 s10, 0x3fb8aa3b
	s_mov_b32 s11, 0x42b17218
	s_waitcnt lgkmcnt(0)
	ds_bpermute_b32 v10, v5, v3
	v_max_f32_e32 v3, v3, v3
	s_waitcnt lgkmcnt(0)
	v_max_f32_e32 v10, v10, v10
	v_max_f32_e32 v3, v3, v10
	ds_bpermute_b32 v10, v6, v3
	s_waitcnt lgkmcnt(0)
	v_max_f32_e32 v10, v10, v10
	v_max_f32_e32 v3, v3, v10
	ds_bpermute_b32 v10, v7, v3
	;; [unrolled: 4-line block ×4, first 2 shown]
	s_waitcnt lgkmcnt(0)
	v_max_f32_e32 v10, v10, v10
	v_max_f32_e32 v3, v3, v10
	v_sub_f32_e32 v10, v51, v3
	v_mul_f32_e32 v12, 0x3fb8aa3b, v10
	v_fma_f32 v15, v10, s10, -v12
	v_rndne_f32_e32 v16, v12
	v_fmac_f32_e32 v15, 0x32a5705f, v10
	v_sub_f32_e32 v12, v12, v16
	v_add_f32_e32 v12, v12, v15
	v_cvt_i32_f32_e32 v16, v16
	v_exp_f32_e32 v12, v12
	s_mov_b32 s10, 0xc2ce8ed0
	v_cmp_ngt_f32_e32 vcc, s10, v10
	v_mov_b32_e32 v15, 0x7f800000
	v_ldexp_f32 v12, v12, v16
	v_cndmask_b32_e32 v12, 0, v12, vcc
	v_cmp_nlt_f32_e32 vcc, s11, v10
	v_cndmask_b32_e32 v10, v15, v12, vcc
	v_mul_f32_e32 v12, v117, v10
	ds_bpermute_b32 v12, v5, v12
	s_waitcnt lgkmcnt(0)
	v_fmac_f32_e32 v12, v117, v10
	ds_bpermute_b32 v15, v6, v12
	v_cvt_f16_f32_e32 v10, v10
	s_waitcnt lgkmcnt(0)
	v_add_f32_e32 v12, v12, v15
	ds_bpermute_b32 v15, v7, v12
	v_mul_u32_u24_e32 v16, 0x10001, v10
	s_waitcnt lgkmcnt(0)
	v_add_f32_e32 v12, v12, v15
	ds_bpermute_b32 v15, v8, v12
	s_waitcnt lgkmcnt(0)
	v_add_f32_e32 v10, v12, v15
	ds_bpermute_b32 v12, v9, v10
	s_waitcnt vmcnt(1)
	v_pk_mul_f16 v13, v13, v16
	s_waitcnt vmcnt(0)
	v_pk_mul_f16 v14, v14, v16
	buffer_store_dword v13, off, s[0:3], 0 offset:8
	buffer_store_dword v14, off, s[0:3], 0 offset:12
	ds_write_b64 v11, v[13:14]
	s_and_saveexec_b64 s[10:11], s[8:9]
	s_cbranch_execz .LBB22_83
; %bb.82:
	s_waitcnt lgkmcnt(1)
	v_add_f32_e32 v10, v10, v12
	ds_write_b32 v1, v10 offset:128
.LBB22_83:
	s_or_b64 exec, exec, s[10:11]
	s_waitcnt vmcnt(0) lgkmcnt(0)
	s_barrier
	ds_read_b32 v1, v4 offset:128
	ds_read_u16 v4, v55
	ds_read_u16 v10, v55 offset:256
	ds_read_u16 v11, v55 offset:512
	;; [unrolled: 1-line block ×3, first 2 shown]
	s_waitcnt lgkmcnt(4)
	ds_bpermute_b32 v5, v5, v1
	s_waitcnt lgkmcnt(4)
	v_cvt_f32_f16_e32 v4, v4
	s_add_i32 s12, s12, s23
	s_waitcnt lgkmcnt(0)
	v_add_f32_e32 v1, v1, v5
	ds_bpermute_b32 v5, v6, v1
	v_cvt_f32_f16_e32 v6, v10
	v_add_f32_e32 v4, 0, v4
	s_waitcnt lgkmcnt(0)
	v_add_f32_e32 v1, v1, v5
	ds_bpermute_b32 v5, v7, v1
	v_cvt_f32_f16_e32 v7, v11
	v_add_f32_e32 v4, v4, v6
	;; [unrolled: 5-line block ×3, first 2 shown]
	s_waitcnt lgkmcnt(0)
	v_add_f32_e32 v1, v1, v5
	ds_bpermute_b32 v5, v9, v1
	v_add_f32_e32 v6, v4, v8
	s_waitcnt lgkmcnt(0)
	v_add_f32_e32 v117, v1, v5
	v_div_scale_f32 v1, s[8:9], v117, v117, v6
	v_div_scale_f32 v4, vcc, v6, v117, v6
	s_mul_i32 s8, s6, s12
	s_add_i32 s8, s8, s7
	v_rcp_f32_e32 v5, v1
	v_fma_f32 v7, -v1, v5, 1.0
	v_fmac_f32_e32 v5, v7, v5
	v_mul_f32_e32 v7, v4, v5
	v_fma_f32 v8, -v1, v7, v4
	v_fmac_f32_e32 v7, v8, v5
	v_fma_f32 v1, -v1, v7, v4
	v_div_fmas_f32 v1, v1, v5, v7
	v_lshl_or_b32 v4, s8, 7, v53
	v_mov_b32_e32 v5, 0
	v_lshlrev_b64 v[4:5], 2, v[4:5]
	v_mov_b32_e32 v7, s49
	v_add_co_u32_e32 v4, vcc, s48, v4
	v_addc_co_u32_e32 v5, vcc, v7, v5, vcc
	v_div_fixup_f32 v1, v1, v117, v6
	v_cndmask_b32_e64 v1, v6, v1, s[4:5]
	global_store_dword v[4:5], v1, off
.LBB22_84:
	v_mov_b32_e32 v51, v3
	v_mov_b32_e32 v50, v2
.LBB22_85:
	s_waitcnt lgkmcnt(0)
	s_cmp_lg_u32 s6, 1
	s_cselect_b64 s[4:5], -1, 0
	v_cmp_gt_u32_e32 vcc, 2, v53
	v_or_b32_e32 v0, s26, v0
	s_and_b64 s[4:5], s[4:5], vcc
	v_cmp_gt_i32_e32 vcc, s22, v0
	s_and_b64 s[4:5], s[4:5], vcc
	s_and_saveexec_b64 s[8:9], s[4:5]
	s_cbranch_execz .LBB22_87
; %bb.86:
	v_add_u32_e32 v0, s33, v0
	v_mul_lo_u32 v1, v0, s23
	v_mov_b32_e32 v3, 0
	v_cmp_eq_u32_e32 vcc, 1, v53
	v_cndmask_b32_e32 v0, v50, v51, vcc
	v_add_u32_e32 v1, s24, v1
	v_mul_lo_u32 v2, s6, v1
	v_mov_b32_e32 v4, s51
	v_cndmask_b32_e32 v1, v100, v117, vcc
	v_add_u32_e32 v2, s7, v2
	v_lshlrev_b64 v[2:3], 3, v[2:3]
	v_add_co_u32_e32 v2, vcc, s50, v2
	v_addc_co_u32_e32 v3, vcc, v4, v3, vcc
	global_store_dwordx2 v[2:3], v[0:1], off
.LBB22_87:
	s_endpgm
	.section	.rodata,"a",@progbits
	.p2align	6, 0x0
	.amdhsa_kernel _ZL18flash_attn_ext_vecILi128ELi2EL9ggml_type2ELS0_8ELb1EEvPKcS2_S2_S2_S2_PKiPfP15HIP_vector_typeIfLj2EEffffjfiS6_IjLj3EEiiiiiiiiiiiliiliiiiil
		.amdhsa_group_segment_fixed_size 1536
		.amdhsa_private_segment_fixed_size 32
		.amdhsa_kernarg_size 464
		.amdhsa_user_sgpr_count 6
		.amdhsa_user_sgpr_private_segment_buffer 1
		.amdhsa_user_sgpr_dispatch_ptr 0
		.amdhsa_user_sgpr_queue_ptr 0
		.amdhsa_user_sgpr_kernarg_segment_ptr 1
		.amdhsa_user_sgpr_dispatch_id 0
		.amdhsa_user_sgpr_flat_scratch_init 0
		.amdhsa_user_sgpr_private_segment_size 0
		.amdhsa_uses_dynamic_stack 0
		.amdhsa_system_sgpr_private_segment_wavefront_offset 1
		.amdhsa_system_sgpr_workgroup_id_x 1
		.amdhsa_system_sgpr_workgroup_id_y 1
		.amdhsa_system_sgpr_workgroup_id_z 1
		.amdhsa_system_sgpr_workgroup_info 0
		.amdhsa_system_vgpr_workitem_id 1
		.amdhsa_next_free_vgpr 250
		.amdhsa_next_free_sgpr 67
		.amdhsa_reserve_vcc 1
		.amdhsa_reserve_flat_scratch 0
		.amdhsa_float_round_mode_32 0
		.amdhsa_float_round_mode_16_64 0
		.amdhsa_float_denorm_mode_32 3
		.amdhsa_float_denorm_mode_16_64 3
		.amdhsa_dx10_clamp 1
		.amdhsa_ieee_mode 1
		.amdhsa_fp16_overflow 0
		.amdhsa_exception_fp_ieee_invalid_op 0
		.amdhsa_exception_fp_denorm_src 0
		.amdhsa_exception_fp_ieee_div_zero 0
		.amdhsa_exception_fp_ieee_overflow 0
		.amdhsa_exception_fp_ieee_underflow 0
		.amdhsa_exception_fp_ieee_inexact 0
		.amdhsa_exception_int_div_zero 0
	.end_amdhsa_kernel
	.section	.text._ZL18flash_attn_ext_vecILi128ELi2EL9ggml_type2ELS0_8ELb1EEvPKcS2_S2_S2_S2_PKiPfP15HIP_vector_typeIfLj2EEffffjfiS6_IjLj3EEiiiiiiiiiiiliiliiiiil,"axG",@progbits,_ZL18flash_attn_ext_vecILi128ELi2EL9ggml_type2ELS0_8ELb1EEvPKcS2_S2_S2_S2_PKiPfP15HIP_vector_typeIfLj2EEffffjfiS6_IjLj3EEiiiiiiiiiiiliiliiiiil,comdat
.Lfunc_end22:
	.size	_ZL18flash_attn_ext_vecILi128ELi2EL9ggml_type2ELS0_8ELb1EEvPKcS2_S2_S2_S2_PKiPfP15HIP_vector_typeIfLj2EEffffjfiS6_IjLj3EEiiiiiiiiiiiliiliiiiil, .Lfunc_end22-_ZL18flash_attn_ext_vecILi128ELi2EL9ggml_type2ELS0_8ELb1EEvPKcS2_S2_S2_S2_PKiPfP15HIP_vector_typeIfLj2EEffffjfiS6_IjLj3EEiiiiiiiiiiiliiliiiiil
                                        ; -- End function
	.set _ZL18flash_attn_ext_vecILi128ELi2EL9ggml_type2ELS0_8ELb1EEvPKcS2_S2_S2_S2_PKiPfP15HIP_vector_typeIfLj2EEffffjfiS6_IjLj3EEiiiiiiiiiiiliiliiiiil.num_vgpr, 250
	.set _ZL18flash_attn_ext_vecILi128ELi2EL9ggml_type2ELS0_8ELb1EEvPKcS2_S2_S2_S2_PKiPfP15HIP_vector_typeIfLj2EEffffjfiS6_IjLj3EEiiiiiiiiiiiliiliiiiil.num_agpr, 0
	.set _ZL18flash_attn_ext_vecILi128ELi2EL9ggml_type2ELS0_8ELb1EEvPKcS2_S2_S2_S2_PKiPfP15HIP_vector_typeIfLj2EEffffjfiS6_IjLj3EEiiiiiiiiiiiliiliiiiil.numbered_sgpr, 67
	.set _ZL18flash_attn_ext_vecILi128ELi2EL9ggml_type2ELS0_8ELb1EEvPKcS2_S2_S2_S2_PKiPfP15HIP_vector_typeIfLj2EEffffjfiS6_IjLj3EEiiiiiiiiiiiliiliiiiil.num_named_barrier, 0
	.set _ZL18flash_attn_ext_vecILi128ELi2EL9ggml_type2ELS0_8ELb1EEvPKcS2_S2_S2_S2_PKiPfP15HIP_vector_typeIfLj2EEffffjfiS6_IjLj3EEiiiiiiiiiiiliiliiiiil.private_seg_size, 32
	.set _ZL18flash_attn_ext_vecILi128ELi2EL9ggml_type2ELS0_8ELb1EEvPKcS2_S2_S2_S2_PKiPfP15HIP_vector_typeIfLj2EEffffjfiS6_IjLj3EEiiiiiiiiiiiliiliiiiil.uses_vcc, 1
	.set _ZL18flash_attn_ext_vecILi128ELi2EL9ggml_type2ELS0_8ELb1EEvPKcS2_S2_S2_S2_PKiPfP15HIP_vector_typeIfLj2EEffffjfiS6_IjLj3EEiiiiiiiiiiiliiliiiiil.uses_flat_scratch, 0
	.set _ZL18flash_attn_ext_vecILi128ELi2EL9ggml_type2ELS0_8ELb1EEvPKcS2_S2_S2_S2_PKiPfP15HIP_vector_typeIfLj2EEffffjfiS6_IjLj3EEiiiiiiiiiiiliiliiiiil.has_dyn_sized_stack, 0
	.set _ZL18flash_attn_ext_vecILi128ELi2EL9ggml_type2ELS0_8ELb1EEvPKcS2_S2_S2_S2_PKiPfP15HIP_vector_typeIfLj2EEffffjfiS6_IjLj3EEiiiiiiiiiiiliiliiiiil.has_recursion, 0
	.set _ZL18flash_attn_ext_vecILi128ELi2EL9ggml_type2ELS0_8ELb1EEvPKcS2_S2_S2_S2_PKiPfP15HIP_vector_typeIfLj2EEffffjfiS6_IjLj3EEiiiiiiiiiiiliiliiiiil.has_indirect_call, 0
	.section	.AMDGPU.csdata,"",@progbits
; Kernel info:
; codeLenInByte = 19492
; TotalNumSgprs: 71
; NumVgprs: 250
; ScratchSize: 32
; MemoryBound: 0
; FloatMode: 240
; IeeeMode: 1
; LDSByteSize: 1536 bytes/workgroup (compile time only)
; SGPRBlocks: 8
; VGPRBlocks: 62
; NumSGPRsForWavesPerEU: 71
; NumVGPRsForWavesPerEU: 250
; Occupancy: 1
; WaveLimiterHint : 0
; COMPUTE_PGM_RSRC2:SCRATCH_EN: 1
; COMPUTE_PGM_RSRC2:USER_SGPR: 6
; COMPUTE_PGM_RSRC2:TRAP_HANDLER: 0
; COMPUTE_PGM_RSRC2:TGID_X_EN: 1
; COMPUTE_PGM_RSRC2:TGID_Y_EN: 1
; COMPUTE_PGM_RSRC2:TGID_Z_EN: 1
; COMPUTE_PGM_RSRC2:TIDIG_COMP_CNT: 1
	.section	.text._ZL18flash_attn_ext_vecILi256ELi1EL9ggml_type2ELS0_8ELb0EEvPKcS2_S2_S2_S2_PKiPfP15HIP_vector_typeIfLj2EEffffjfiS6_IjLj3EEiiiiiiiiiiiliiliiiiil,"axG",@progbits,_ZL18flash_attn_ext_vecILi256ELi1EL9ggml_type2ELS0_8ELb0EEvPKcS2_S2_S2_S2_PKiPfP15HIP_vector_typeIfLj2EEffffjfiS6_IjLj3EEiiiiiiiiiiiliiliiiiil,comdat
	.globl	_ZL18flash_attn_ext_vecILi256ELi1EL9ggml_type2ELS0_8ELb0EEvPKcS2_S2_S2_S2_PKiPfP15HIP_vector_typeIfLj2EEffffjfiS6_IjLj3EEiiiiiiiiiiiliiliiiiil ; -- Begin function _ZL18flash_attn_ext_vecILi256ELi1EL9ggml_type2ELS0_8ELb0EEvPKcS2_S2_S2_S2_PKiPfP15HIP_vector_typeIfLj2EEffffjfiS6_IjLj3EEiiiiiiiiiiiliiliiiiil
	.p2align	8
	.type	_ZL18flash_attn_ext_vecILi256ELi1EL9ggml_type2ELS0_8ELb0EEvPKcS2_S2_S2_S2_PKiPfP15HIP_vector_typeIfLj2EEffffjfiS6_IjLj3EEiiiiiiiiiiiliiliiiiil,@function
_ZL18flash_attn_ext_vecILi256ELi1EL9ggml_type2ELS0_8ELb0EEvPKcS2_S2_S2_S2_PKiPfP15HIP_vector_typeIfLj2EEffffjfiS6_IjLj3EEiiiiiiiiiiiliiliiiiil: ; @_ZL18flash_attn_ext_vecILi256ELi1EL9ggml_type2ELS0_8ELb0EEvPKcS2_S2_S2_S2_PKiPfP15HIP_vector_typeIfLj2EEffffjfiS6_IjLj3EEiiiiiiiiiiiliiliiiiil
; %bb.0:
	s_load_dwordx2 s[34:35], s[4:5], 0x64
	s_load_dwordx2 s[38:39], s[4:5], 0x80
	;; [unrolled: 1-line block ×3, first 2 shown]
	v_mov_b32_e32 v51, 1.0
	s_waitcnt lgkmcnt(0)
	v_cvt_f32_u32_e32 v2, s35
	s_sub_i32 s0, 0, s35
	v_rcp_iflag_f32_e32 v2, v2
	v_mul_f32_e32 v2, 0x4f7ffffe, v2
	v_cvt_u32_f32_e32 v2, v2
	v_readfirstlane_b32 s1, v2
	s_mul_i32 s0, s0, s1
	s_mul_hi_u32 s0, s1, s0
	s_add_i32 s1, s1, s0
	s_mul_hi_u32 s0, s8, s1
	s_mul_i32 s1, s0, s35
	s_sub_i32 s1, s8, s1
	s_add_i32 s2, s0, 1
	s_sub_i32 s3, s1, s35
	s_cmp_ge_u32 s1, s35
	s_cselect_b32 s0, s2, s0
	s_cselect_b32 s1, s3, s1
	s_add_i32 s2, s0, 1
	s_cmp_ge_u32 s1, s35
	s_cselect_b32 s33, s2, s0
	s_abs_i32 s0, s39
	v_cvt_f32_u32_e32 v2, s0
	s_mul_i32 s3, s33, s35
	s_sub_i32 s9, 0, s0
	s_sub_i32 s36, s8, s3
	v_rcp_iflag_f32_e32 v2, v2
	s_abs_i32 s2, s35
	s_xor_b32 s1, s35, s39
	s_ashr_i32 s1, s1, 31
	v_mul_f32_e32 v2, 0x4f7ffffe, v2
	v_cvt_u32_f32_e32 v2, v2
	v_readfirstlane_b32 s3, v2
	s_mul_i32 s9, s9, s3
	s_mul_hi_u32 s8, s3, s9
	s_add_i32 s3, s3, s8
	s_mul_hi_u32 s3, s2, s3
	s_mul_i32 s8, s3, s0
	s_sub_i32 s2, s2, s8
	s_add_i32 s9, s3, 1
	s_sub_i32 s8, s2, s0
	s_cmp_ge_u32 s2, s0
	s_cselect_b32 s3, s9, s3
	s_cselect_b32 s2, s8, s2
	s_add_i32 s8, s3, 1
	s_cmp_ge_u32 s2, s0
	s_cselect_b32 s0, s8, s3
	s_xor_b32 s0, s0, s1
	s_sub_i32 s41, s0, s1
	s_abs_i32 s39, s42
	s_abs_i32 s42, s41
	v_cvt_f32_u32_e32 v3, s42
	v_cvt_f32_u32_e32 v2, s39
	s_load_dwordx4 s[28:31], s[4:5], 0x40
	s_load_dword s0, s[4:5], 0x50
	s_sub_i32 s2, 0, s42
	v_rcp_iflag_f32_e32 v3, v3
	v_rcp_iflag_f32_e32 v2, v2
	s_sub_i32 s1, 0, s39
	s_abs_i32 s44, s36
	v_mul_f32_e32 v3, 0x4f7ffffe, v3
	v_mul_f32_e32 v2, 0x4f7ffffe, v2
	v_cvt_u32_f32_e32 v3, v3
	v_cvt_u32_f32_e32 v2, v2
	s_abs_i32 s40, s33
	v_readfirstlane_b32 s8, v3
	v_readfirstlane_b32 s9, v2
	s_mul_i32 s2, s2, s8
	s_mul_hi_u32 s2, s8, s2
	s_mul_i32 s1, s1, s9
	s_add_i32 s8, s8, s2
	s_mul_hi_u32 s1, s9, s1
	s_waitcnt lgkmcnt(0)
	v_cmp_le_f32_e64 s[2:3], s29, 0
	s_add_i32 s9, s9, s1
	s_and_b64 vcc, exec, s[2:3]
	s_cbranch_vccnz .LBB23_2
; %bb.1:
	v_mov_b32_e32 v2, s0
	v_sub_co_u32_e32 v2, vcc, s36, v2
	v_mov_b32_e32 v3, s31
	v_mov_b32_e32 v4, s30
	s_add_i32 s0, s36, 1
	v_lshlrev_b32_e32 v2, 1, v2
	v_cndmask_b32_e32 v3, v3, v4, vcc
	v_or_b32_e32 v2, 1, v2
	v_mov_b32_e32 v4, s0
	v_cndmask_b32_e32 v2, v2, v4, vcc
	v_cvt_f32_i32_e32 v2, v2
	v_cmp_neq_f32_e32 vcc, 1.0, v3
	s_mov_b32 s0, 0x3f2aaaab
	s_movk_i32 s2, 0x204
	v_cndmask_b32_e32 v4, 1.0, v2, vcc
	v_cmp_neq_f32_e32 vcc, 0, v4
	v_cndmask_b32_e32 v5, 1.0, v3, vcc
	v_frexp_mant_f32_e64 v2, |v5|
	v_cmp_gt_f32_e32 vcc, s0, v2
	v_cndmask_b32_e64 v3, 1.0, 2.0, vcc
	v_mul_f32_e32 v2, v2, v3
	v_add_f32_e32 v3, 1.0, v2
	v_rcp_f32_e32 v6, v3
	v_add_f32_e32 v7, -1.0, v2
	v_add_f32_e32 v8, -1.0, v3
	v_sub_f32_e32 v2, v2, v8
	v_mul_f32_e32 v8, v7, v6
	v_mul_f32_e32 v9, v3, v8
	v_fma_f32 v3, v8, v3, -v9
	v_fmac_f32_e32 v3, v8, v2
	v_add_f32_e32 v2, v9, v3
	v_sub_f32_e32 v10, v7, v2
	v_sub_f32_e32 v9, v2, v9
	;; [unrolled: 1-line block ×5, first 2 shown]
	v_add_f32_e32 v2, v3, v2
	v_add_f32_e32 v2, v10, v2
	v_mul_f32_e32 v2, v6, v2
	v_add_f32_e32 v6, v8, v2
	v_sub_f32_e32 v3, v6, v8
	v_sub_f32_e32 v7, v2, v3
	v_mul_f32_e32 v2, v6, v6
	v_fma_f32 v3, v6, v6, -v2
	v_add_f32_e32 v8, v7, v7
	v_fmac_f32_e32 v3, v6, v8
	v_add_f32_e32 v8, v2, v3
	v_mov_b32_e32 v9, 0x3e91f4c4
	v_sub_f32_e32 v2, v8, v2
	v_fmac_f32_e32 v9, 0x3e76c4e1, v8
	v_mov_b32_e32 v10, 0x3ecccdef
	v_sub_f32_e32 v2, v3, v2
	v_mul_f32_e32 v3, v6, v8
	v_fmac_f32_e32 v10, v8, v9
	v_fma_f32 v9, v8, v6, -v3
	v_fmac_f32_e32 v9, v8, v7
	v_fmac_f32_e32 v9, v2, v6
	v_add_f32_e32 v11, v3, v9
	v_sub_f32_e32 v3, v11, v3
	v_sub_f32_e32 v9, v9, v3
	v_mul_f32_e32 v3, v8, v10
	v_fma_f32 v8, v8, v10, -v3
	v_fmac_f32_e32 v8, v2, v10
	v_add_f32_e32 v10, v3, v8
	v_sub_f32_e32 v2, v10, v3
	v_sub_f32_e32 v8, v8, v2
	v_cvt_f64_f32_e64 v[2:3], |v5|
	v_add_f32_e32 v12, 0x3f2aaaaa, v10
	v_add_f32_e32 v13, 0xbf2aaaaa, v12
	;; [unrolled: 1-line block ×3, first 2 shown]
	v_frexp_exp_i32_f64_e32 v2, v[2:3]
	v_sub_f32_e32 v10, v10, v13
	v_add_f32_e32 v3, v8, v10
	v_add_f32_e32 v8, v12, v3
	v_sub_f32_e32 v10, v12, v8
	v_add_f32_e32 v3, v3, v10
	v_mul_f32_e32 v10, v11, v8
	v_fma_f32 v12, v11, v8, -v10
	v_subbrev_co_u32_e32 v2, vcc, 0, v2, vcc
	v_cvt_f32_i32_e32 v2, v2
	v_fmac_f32_e32 v12, v11, v3
	s_mov_b32 s0, 0x3f317218
	v_fmac_f32_e32 v12, v9, v8
	v_mul_f32_e32 v3, 0x3f317218, v2
	v_fma_f32 v8, v2, s0, -v3
	v_fmac_f32_e32 v8, 0xb102e308, v2
	v_ldexp_f32 v2, v7, 1
	v_add_f32_e32 v7, v3, v8
	v_sub_f32_e32 v3, v7, v3
	v_ldexp_f32 v6, v6, 1
	v_sub_f32_e32 v3, v8, v3
	v_add_f32_e32 v8, v10, v12
	v_sub_f32_e32 v9, v8, v10
	v_add_f32_e32 v10, v6, v8
	v_sub_f32_e32 v9, v12, v9
	v_sub_f32_e32 v6, v10, v6
	;; [unrolled: 1-line block ×3, first 2 shown]
	v_add_f32_e32 v2, v2, v9
	v_add_f32_e32 v2, v2, v6
	;; [unrolled: 1-line block ×3, first 2 shown]
	v_sub_f32_e32 v8, v6, v10
	v_sub_f32_e32 v2, v2, v8
	v_add_f32_e32 v8, v7, v6
	v_sub_f32_e32 v9, v8, v7
	v_sub_f32_e32 v10, v8, v9
	;; [unrolled: 1-line block ×4, first 2 shown]
	v_add_f32_e32 v6, v6, v7
	v_add_f32_e32 v7, v3, v2
	v_sub_f32_e32 v9, v7, v3
	v_sub_f32_e32 v10, v7, v9
	;; [unrolled: 1-line block ×4, first 2 shown]
	v_add_f32_e32 v2, v2, v3
	v_add_f32_e32 v3, v7, v6
	;; [unrolled: 1-line block ×3, first 2 shown]
	v_sub_f32_e32 v7, v6, v8
	v_sub_f32_e32 v3, v3, v7
	v_add_f32_e32 v2, v2, v3
	v_add_f32_e32 v3, v6, v2
	v_sub_f32_e32 v6, v3, v6
	v_sub_f32_e32 v2, v2, v6
	v_mul_f32_e32 v6, v4, v3
	v_fma_f32 v3, v4, v3, -v6
	v_fmac_f32_e32 v3, v4, v2
	v_add_f32_e32 v2, v6, v3
	v_cmp_class_f32_e64 vcc, v6, s2
	v_sub_f32_e32 v7, v2, v6
	v_cndmask_b32_e32 v2, v2, v6, vcc
	s_mov_b32 s1, 0x42b17218
	v_mov_b32_e32 v6, 0x37000000
	v_cmp_eq_f32_e32 vcc, s1, v2
	v_cndmask_b32_e32 v6, 0, v6, vcc
	v_sub_f32_e32 v3, v3, v7
	v_sub_f32_e32 v7, v2, v6
	s_mov_b32 s3, 0x3fb8aa3b
	v_mul_f32_e32 v8, 0x3fb8aa3b, v7
	v_fma_f32 v9, v7, s3, -v8
	v_rndne_f32_e32 v10, v8
	v_fmac_f32_e32 v9, 0x32a5705f, v7
	v_sub_f32_e32 v8, v8, v10
	v_add_f32_e32 v8, v8, v9
	v_exp_f32_e32 v8, v8
	v_cvt_i32_f32_e32 v9, v10
	s_mov_b32 s0, 0x7f800000
	v_cmp_neq_f32_e64 vcc, |v2|, s0
	s_mov_b32 s0, 0xc2ce8ed0
	v_cndmask_b32_e32 v2, 0, v3, vcc
	v_ldexp_f32 v3, v8, v9
	v_cmp_ngt_f32_e32 vcc, s0, v7
	v_add_f32_e32 v2, v6, v2
	v_cndmask_b32_e32 v3, 0, v3, vcc
	v_mov_b32_e32 v6, 0x7f800000
	v_cmp_nlt_f32_e32 vcc, s1, v7
	v_cndmask_b32_e32 v3, v6, v3, vcc
	v_fma_f32 v2, v3, v2, v3
	v_cmp_class_f32_e64 vcc, v3, s2
	v_cndmask_b32_e32 v2, v2, v3, vcc
	v_trunc_f32_e32 v3, v4
	v_cmp_eq_f32_e32 vcc, v3, v4
	v_mul_f32_e32 v3, 0.5, v4
	v_trunc_f32_e32 v8, v3
	v_cmp_neq_f32_e64 s[0:1], v8, v3
	s_and_b64 s[0:1], vcc, s[0:1]
	v_cndmask_b32_e64 v3, 1.0, v5, s[0:1]
	s_brev_b32 s12, -2
	v_mov_b32_e32 v7, 0x7fc00000
	v_bfi_b32 v2, s12, v2, v3
	v_cndmask_b32_e32 v3, v7, v2, vcc
	v_cmp_gt_f32_e32 vcc, 0, v5
	v_cndmask_b32_e32 v2, v2, v3, vcc
	v_cmp_class_f32_e64 s[10:11], v5, s2
	v_cmp_eq_f32_e32 vcc, 0, v5
	v_cmp_gt_f32_e64 s[2:3], 0, v4
	s_xor_b64 s[2:3], s[2:3], vcc
	v_cndmask_b32_e64 v3, v6, 0, s[2:3]
	v_cndmask_b32_e64 v4, 0, v5, s[0:1]
	v_bfi_b32 v3, s12, v3, v4
	s_or_b64 vcc, vcc, s[10:11]
	v_cndmask_b32_e32 v2, v2, v3, vcc
	v_cmp_o_f32_e32 vcc, v5, v5
	v_cndmask_b32_e32 v51, v7, v2, vcc
.LBB23_2:
	s_load_dwordx16 s[12:27], s[4:5], 0x0
	s_mul_hi_u32 s46, s44, s8
	s_mul_hi_u32 s45, s40, s9
	v_cmp_eq_u32_e64 s[0:1], 0, v1
	v_mbcnt_lo_u32_b32 v50, -1, 0
	s_and_saveexec_b64 s[30:31], s[0:1]
	s_cbranch_execz .LBB23_11
; %bb.3:
	s_load_dwordx4 s[8:11], s[4:5], 0x70
	v_lshlrev_b32_e32 v2, 4, v0
	v_mbcnt_hi_u32_b32 v3, -1, v50
	v_and_b32_e32 v4, 0x60, v3
	v_xor_b32_e32 v5, 4, v3
	s_waitcnt lgkmcnt(0)
	s_mul_i32 s2, s33, s10
	s_mul_i32 s8, s8, s6
	;; [unrolled: 1-line block ×3, first 2 shown]
	s_add_i32 s2, s2, s8
	s_add_i32 s2, s2, s3
	s_ashr_i32 s3, s2, 31
	s_add_u32 s2, s12, s2
	s_addc_u32 s3, s13, s3
	global_load_dwordx4 v[14:17], v2, s[2:3]
	v_add_u32_e32 v4, 32, v4
	v_cmp_lt_i32_e32 vcc, v5, v4
	v_cndmask_b32_e32 v5, v3, v5, vcc
	v_lshlrev_b32_e32 v6, 2, v5
	s_mov_b32 s10, 0x42fe0000
	s_waitcnt vmcnt(0)
	v_mul_f32_e32 v13, s28, v14
	v_mul_f32_e32 v10, s28, v15
	v_mul_f32_e32 v9, s28, v16
	v_mul_f32_e32 v5, s28, v17
	v_max_f32_e64 v7, |v13|, |v10|
	v_max3_f32 v8, v7, |v9|, |v5|
	ds_bpermute_b32 v11, v6, v8
	v_xor_b32_e32 v7, 2, v3
	v_cmp_lt_i32_e32 vcc, v7, v4
	v_cndmask_b32_e32 v7, v3, v7, vcc
	v_lshlrev_b32_e32 v7, 2, v7
	s_waitcnt lgkmcnt(0)
	v_max_f32_e32 v11, v11, v11
	v_max_f32_e32 v11, v8, v11
	ds_bpermute_b32 v12, v7, v11
	v_xor_b32_e32 v8, 1, v3
	v_cmp_lt_i32_e32 vcc, v8, v4
	v_cndmask_b32_e32 v3, v3, v8, vcc
	v_lshlrev_b32_e32 v8, 2, v3
	s_waitcnt lgkmcnt(0)
	v_max_f32_e32 v3, v12, v12
	v_max_f32_e32 v3, v11, v3
	ds_bpermute_b32 v4, v8, v3
	v_fma_f32 v12, s28, v14, v10
	v_fmac_f32_e32 v12, s28, v16
	v_fmac_f32_e32 v12, s28, v17
	ds_bpermute_b32 v15, v6, v12
	s_waitcnt lgkmcnt(1)
	v_max_f32_e32 v4, v4, v4
	v_max_f32_e32 v4, v3, v4
	v_div_scale_f32 v3, s[8:9], s10, s10, v4
	v_div_scale_f32 v11, vcc, v4, s10, v4
	v_rcp_f32_e32 v14, v3
	v_fma_f32 v16, -v3, v14, 1.0
	v_fmac_f32_e32 v14, v16, v14
	v_mul_f32_e32 v16, v11, v14
	v_fma_f32 v17, -v3, v16, v11
	v_fmac_f32_e32 v16, v17, v14
	v_fma_f32 v3, -v3, v16, v11
	v_div_fmas_f32 v16, v3, v14, v16
	s_waitcnt lgkmcnt(0)
	v_add_f32_e32 v3, v12, v15
	ds_bpermute_b32 v11, v7, v3
	v_mov_b32_e32 v15, s3
	v_add_co_u32_e32 v2, vcc, s2, v2
	v_mov_b32_e32 v14, 0
	s_waitcnt lgkmcnt(0)
	v_add_f32_e32 v11, v3, v11
	ds_bpermute_b32 v12, v8, v11
	v_addc_co_u32_e32 v3, vcc, 0, v15, vcc
	v_div_fixup_f32 v4, v16, s10, v4
	v_cmp_neq_f32_e32 vcc, 0, v4
	s_and_saveexec_b64 s[12:13], vcc
	s_cbranch_execz .LBB23_5
; %bb.4:
	v_div_scale_f32 v14, s[2:3], v4, v4, v13
	v_div_scale_f32 v17, vcc, v13, v4, v13
	v_div_scale_f32 v15, s[2:3], v4, v4, v10
	v_div_scale_f32 v16, s[2:3], v4, v4, v9
	;; [unrolled: 1-line block ×5, first 2 shown]
	s_brev_b32 s29, -2
	v_rcp_f32_e32 v20, v14
	v_rcp_f32_e32 v22, v15
	v_fma_f32 v24, -v14, v20, 1.0
	v_fmac_f32_e32 v20, v24, v20
	v_mul_f32_e32 v24, v17, v20
	v_fma_f32 v25, -v14, v24, v17
	v_fmac_f32_e32 v24, v25, v20
	v_fma_f32 v14, -v14, v24, v17
	v_div_fmas_f32 v14, v14, v20, v24
	v_div_scale_f32 v17, s[10:11], v5, v4, v5
	v_fma_f32 v20, -v15, v22, 1.0
	v_fmac_f32_e32 v22, v20, v22
	v_mul_f32_e32 v20, v18, v22
	v_fma_f32 v25, -v15, v20, v18
	v_fmac_f32_e32 v20, v25, v22
	v_rcp_f32_e32 v23, v16
	v_fma_f32 v15, -v15, v20, v18
	s_mov_b64 vcc, s[2:3]
	v_div_fmas_f32 v15, v15, v22, v20
	v_fma_f32 v24, -v16, v23, 1.0
	v_fmac_f32_e32 v23, v24, v23
	v_mul_f32_e32 v24, v19, v23
	v_fma_f32 v26, -v16, v24, v19
	v_div_fixup_f32 v13, v14, v4, v13
	v_trunc_f32_e32 v14, v13
	v_sub_f32_e32 v18, v13, v14
	v_cmp_ge_f32_e64 s[2:3], |v18|, 0.5
	v_cndmask_b32_e64 v18, 0, 1.0, s[2:3]
	v_bfi_b32 v13, s29, v18, v13
	v_add_f32_e32 v13, v14, v13
	v_rcp_f32_e32 v14, v21
	v_fmac_f32_e32 v24, v26, v23
	v_fma_f32 v16, -v16, v24, v19
	s_mov_b64 vcc, s[8:9]
	v_fma_f32 v18, -v21, v14, 1.0
	v_fmac_f32_e32 v14, v18, v14
	v_div_fmas_f32 v16, v16, v23, v24
	v_mul_f32_e32 v18, v17, v14
	v_fma_f32 v19, -v21, v18, v17
	v_fmac_f32_e32 v18, v19, v14
	v_fma_f32 v17, -v21, v18, v17
	s_mov_b64 vcc, s[10:11]
	v_div_fmas_f32 v14, v17, v14, v18
	v_div_fixup_f32 v10, v15, v4, v10
	v_trunc_f32_e32 v15, v10
	v_sub_f32_e32 v17, v10, v15
	v_cmp_ge_f32_e64 s[2:3], |v17|, 0.5
	v_cndmask_b32_e64 v17, 0, 1.0, s[2:3]
	v_bfi_b32 v10, s29, v17, v10
	v_add_f32_e32 v10, v15, v10
	v_cvt_i32_f32_e32 v13, v13
	v_cvt_i32_f32_e32 v10, v10
	v_div_fixup_f32 v9, v16, v4, v9
	v_trunc_f32_e32 v15, v9
	v_sub_f32_e32 v16, v9, v15
	v_cmp_ge_f32_e64 s[2:3], |v16|, 0.5
	v_cndmask_b32_e64 v16, 0, 1.0, s[2:3]
	v_bfi_b32 v9, s29, v16, v9
	v_div_fixup_f32 v5, v14, v4, v5
	v_trunc_f32_e32 v14, v5
	v_add_f32_e32 v9, v15, v9
	v_sub_f32_e32 v15, v5, v14
	v_cmp_ge_f32_e64 s[2:3], |v15|, 0.5
	v_cndmask_b32_e64 v15, 0, 1.0, s[2:3]
	v_cvt_i32_f32_e32 v9, v9
	v_bfi_b32 v5, s29, v15, v5
	v_add_f32_e32 v5, v14, v5
	v_cvt_i32_f32_e32 v5, v5
	v_and_b32_e32 v9, 0xff, v9
	v_lshlrev_b32_e32 v9, 16, v9
	v_lshl_or_b32 v5, v5, 24, v9
	v_mov_b32_e32 v9, 8
	v_lshlrev_b32_sdwa v9, v9, v10 dst_sel:DWORD dst_unused:UNUSED_PAD src0_sel:DWORD src1_sel:BYTE_0
	v_and_b32_e32 v10, 0xff, v13
	v_or3_b32 v14, v5, v9, v10
.LBB23_5:
	s_or_b64 exec, exec, s[12:13]
	v_and_b32_e32 v5, 7, v0
	v_lshlrev_b32_e32 v9, 2, v0
	v_cmp_eq_u32_e64 s[2:3], 0, v5
	ds_write_b32 v9, v14
	s_and_saveexec_b64 s[8:9], s[2:3]
	s_cbranch_execz .LBB23_7
; %bb.6:
	s_waitcnt lgkmcnt(1)
	v_add_f32_e32 v5, v11, v12
	ds_write_b64 v0, v[4:5] offset:256
.LBB23_7:
	s_or_b64 exec, exec, s[8:9]
	s_waitcnt lgkmcnt(1)
	global_load_dwordx4 v[11:14], v[2:3], off offset:512
	s_mov_b32 s10, 0x42fe0000
	s_waitcnt vmcnt(0)
	v_mul_f32_e32 v10, s28, v11
	v_mul_f32_e32 v5, s28, v12
	;; [unrolled: 1-line block ×4, first 2 shown]
	v_max_f32_e64 v2, |v10|, |v5|
	v_max3_f32 v2, v2, |v4|, |v3|
	ds_bpermute_b32 v12, v6, v2
	v_fma_f32 v11, s28, v11, v5
	v_fmac_f32_e32 v11, s28, v13
	v_fmac_f32_e32 v11, s28, v14
	ds_bpermute_b32 v6, v6, v11
	s_waitcnt lgkmcnt(1)
	v_max_f32_e32 v12, v12, v12
	v_max_f32_e32 v2, v2, v12
	ds_bpermute_b32 v12, v7, v2
	s_waitcnt lgkmcnt(1)
	v_add_f32_e32 v6, v11, v6
	ds_bpermute_b32 v7, v7, v6
	s_waitcnt lgkmcnt(1)
	v_max_f32_e32 v12, v12, v12
	v_max_f32_e32 v2, v2, v12
	ds_bpermute_b32 v12, v8, v2
	s_waitcnt lgkmcnt(1)
	v_add_f32_e32 v6, v6, v7
	ds_bpermute_b32 v7, v8, v6
	v_mov_b32_e32 v8, 0
	s_waitcnt lgkmcnt(1)
	v_max_f32_e32 v12, v12, v12
	v_max_f32_e32 v2, v2, v12
	v_div_scale_f32 v12, s[8:9], s10, s10, v2
	v_div_scale_f32 v15, vcc, v2, s10, v2
	v_rcp_f32_e32 v16, v12
	v_fma_f32 v13, -v12, v16, 1.0
	v_fmac_f32_e32 v16, v13, v16
	v_mul_f32_e32 v13, v15, v16
	v_fma_f32 v17, -v12, v13, v15
	v_fmac_f32_e32 v13, v17, v16
	v_fma_f32 v12, -v12, v13, v15
	v_div_fmas_f32 v12, v12, v16, v13
	v_div_fixup_f32 v2, v12, s10, v2
	v_cmp_neq_f32_e32 vcc, 0, v2
	s_and_saveexec_b64 s[28:29], vcc
	s_cbranch_execz .LBB23_9
; %bb.8:
	v_div_scale_f32 v8, s[8:9], v2, v2, v10
	v_div_scale_f32 v13, vcc, v10, v2, v10
	v_div_scale_f32 v11, s[8:9], v2, v2, v5
	v_div_scale_f32 v12, s[8:9], v2, v2, v4
	;; [unrolled: 1-line block ×5, first 2 shown]
	s_brev_b32 s37, -2
	v_rcp_f32_e32 v16, v8
	v_rcp_f32_e32 v18, v11
	v_fma_f32 v20, -v8, v16, 1.0
	v_fmac_f32_e32 v16, v20, v16
	v_mul_f32_e32 v20, v13, v16
	v_fma_f32 v21, -v8, v20, v13
	v_fmac_f32_e32 v20, v21, v16
	v_fma_f32 v8, -v8, v20, v13
	v_div_fmas_f32 v8, v8, v16, v20
	v_div_scale_f32 v13, s[12:13], v3, v2, v3
	v_fma_f32 v16, -v11, v18, 1.0
	v_fmac_f32_e32 v18, v16, v18
	v_mul_f32_e32 v16, v14, v18
	v_fma_f32 v21, -v11, v16, v14
	v_fmac_f32_e32 v16, v21, v18
	v_rcp_f32_e32 v19, v12
	v_fma_f32 v11, -v11, v16, v14
	s_mov_b64 vcc, s[8:9]
	v_div_fmas_f32 v11, v11, v18, v16
	v_fma_f32 v20, -v12, v19, 1.0
	v_fmac_f32_e32 v19, v20, v19
	v_mul_f32_e32 v20, v15, v19
	v_fma_f32 v22, -v12, v20, v15
	v_div_fixup_f32 v8, v8, v2, v10
	v_trunc_f32_e32 v10, v8
	v_sub_f32_e32 v14, v8, v10
	v_cmp_ge_f32_e64 s[8:9], |v14|, 0.5
	v_cndmask_b32_e64 v14, 0, 1.0, s[8:9]
	v_bfi_b32 v8, s37, v14, v8
	v_add_f32_e32 v8, v10, v8
	v_rcp_f32_e32 v10, v17
	v_fmac_f32_e32 v20, v22, v19
	v_fma_f32 v12, -v12, v20, v15
	s_mov_b64 vcc, s[10:11]
	v_fma_f32 v14, -v17, v10, 1.0
	v_fmac_f32_e32 v10, v14, v10
	v_div_fmas_f32 v12, v12, v19, v20
	v_mul_f32_e32 v14, v13, v10
	v_fma_f32 v15, -v17, v14, v13
	v_fmac_f32_e32 v14, v15, v10
	v_fma_f32 v13, -v17, v14, v13
	s_mov_b64 vcc, s[12:13]
	v_div_fmas_f32 v10, v13, v10, v14
	v_div_fixup_f32 v5, v11, v2, v5
	v_trunc_f32_e32 v11, v5
	v_sub_f32_e32 v13, v5, v11
	v_cmp_ge_f32_e64 s[8:9], |v13|, 0.5
	v_cndmask_b32_e64 v13, 0, 1.0, s[8:9]
	v_bfi_b32 v5, s37, v13, v5
	v_add_f32_e32 v5, v11, v5
	v_cvt_i32_f32_e32 v8, v8
	v_cvt_i32_f32_e32 v5, v5
	v_div_fixup_f32 v4, v12, v2, v4
	v_trunc_f32_e32 v11, v4
	v_sub_f32_e32 v12, v4, v11
	v_cmp_ge_f32_e64 s[8:9], |v12|, 0.5
	v_cndmask_b32_e64 v12, 0, 1.0, s[8:9]
	v_bfi_b32 v4, s37, v12, v4
	v_div_fixup_f32 v3, v10, v2, v3
	v_trunc_f32_e32 v10, v3
	v_add_f32_e32 v4, v11, v4
	v_sub_f32_e32 v11, v3, v10
	v_cmp_ge_f32_e64 s[8:9], |v11|, 0.5
	v_cndmask_b32_e64 v11, 0, 1.0, s[8:9]
	v_cvt_i32_f32_e32 v4, v4
	v_bfi_b32 v3, s37, v11, v3
	v_add_f32_e32 v3, v10, v3
	v_cvt_i32_f32_e32 v3, v3
	v_and_b32_e32 v4, 0xff, v4
	v_lshlrev_b32_e32 v4, 16, v4
	v_lshl_or_b32 v3, v3, 24, v4
	v_mov_b32_e32 v4, 8
	v_lshlrev_b32_sdwa v4, v4, v5 dst_sel:DWORD dst_unused:UNUSED_PAD src0_sel:DWORD src1_sel:BYTE_0
	v_and_b32_e32 v5, 0xff, v8
	v_or3_b32 v8, v3, v4, v5
.LBB23_9:
	s_or_b64 exec, exec, s[28:29]
	ds_write_b32 v9, v8 offset:128
	s_and_b64 exec, exec, s[2:3]
	s_cbranch_execz .LBB23_11
; %bb.10:
	s_waitcnt lgkmcnt(1)
	v_add_f32_e32 v3, v6, v7
	ds_write_b64 v0, v[2:3] offset:288
.LBB23_11:
	s_or_b64 exec, exec, s[30:31]
	v_and_b32_e32 v19, 3, v0
	v_lshlrev_b32_e32 v10, 2, v19
	v_mov_b32_e32 v55, 0
	s_waitcnt lgkmcnt(0)
	s_barrier
	ds_read2_b32 v[34:35], v10 offset1:4
	ds_read2_b32 v[36:37], v10 offset0:8 offset1:12
	ds_read_b128 v[2:5], v55 offset:256
	ds_read_b128 v[6:9], v55 offset:272
	ds_read2_b32 v[38:39], v10 offset0:16 offset1:20
	ds_read2_b32 v[40:41], v10 offset0:24 offset1:28
	;; [unrolled: 1-line block ×6, first 2 shown]
	ds_read_b128 v[10:13], v55 offset:288
	ds_read_b128 v[14:17], v55 offset:304
	s_ashr_i32 s37, s36, 31
	s_ashr_i32 s8, s41, 31
	;; [unrolled: 1-line block ×3, first 2 shown]
	s_cmp_eq_u64 s[22:23], 0
	s_waitcnt lgkmcnt(0)
	s_barrier
	s_cbranch_scc1 .LBB23_13
; %bb.12:
	s_load_dword s2, s[4:5], 0xd0
	s_mov_b32 s3, 0
	s_waitcnt lgkmcnt(0)
	s_mul_i32 s2, s2, s33
	s_add_i32 s2, s2, s6
	s_lshl_b64 s[2:3], s[2:3], 2
	s_add_u32 s2, s22, s2
	s_addc_u32 s3, s23, s3
	s_load_dword s38, s[2:3], 0x0
.LBB23_13:
	v_lshlrev_b32_e32 v20, 5, v1
	v_add_u32_e32 v52, v20, v0
	s_lshl_b32 s22, s7, 7
	s_mov_b32 s41, 0
	s_waitcnt lgkmcnt(0)
	s_cmp_ge_i32 s22, s38
	v_lshlrev_b32_e32 v54, 2, v0
	v_lshlrev_b32_e32 v53, 1, v52
	s_cbranch_scc1 .LBB23_25
; %bb.14:
	s_load_dwordx4 s[28:31], s[4:5], 0x98
	s_load_dwordx2 s[12:13], s[4:5], 0x8c
	s_load_dwordx2 s[2:3], s[4:5], 0xa8
	s_xor_b32 s8, s37, s8
	s_mul_i32 s45, s45, s39
	s_waitcnt lgkmcnt(0)
	s_mul_hi_u32 s9, s28, s33
	s_mul_i32 s11, s28, s10
	s_mul_i32 s23, s29, s33
	s_add_i32 s9, s9, s11
	s_add_i32 s9, s9, s23
	s_mul_i32 s23, s46, s42
	s_sub_i32 s23, s44, s23
	s_mul_i32 s11, s28, s33
	s_add_i32 s28, s46, 1
	s_sub_i32 s29, s23, s42
	s_cmp_ge_u32 s23, s42
	s_cselect_b32 s28, s28, s46
	s_cselect_b32 s23, s29, s23
	s_add_i32 s29, s28, 1
	s_cmp_ge_u32 s23, s42
	s_cselect_b32 s23, s29, s28
	s_xor_b32 s23, s23, s8
	s_sub_i32 s23, s23, s8
	s_mul_i32 s8, s23, s13
	s_ashr_i32 s13, s8, 31
	s_add_u32 s11, s14, s11
	s_addc_u32 s9, s15, s9
	s_add_u32 s11, s11, s8
	s_mul_hi_u32 s15, s2, s33
	s_mul_i32 s28, s2, s10
	s_addc_u32 s13, s9, s13
	s_add_i32 s15, s15, s28
	s_mul_i32 s3, s3, s33
	s_mul_i32 s23, s23, s31
	s_add_i32 s15, s15, s3
	s_mul_i32 s2, s2, s33
	s_ashr_i32 s3, s23, 31
	s_add_u32 s2, s16, s2
	s_addc_u32 s15, s17, s15
	s_add_u32 s28, s2, s23
	v_mul_lo_u32 v70, v20, s30
	s_addc_u32 s15, s15, s3
	s_sub_i32 s2, s40, s45
	s_sub_i32 s3, s2, s39
	s_cmp_ge_u32 s2, s39
	s_cselect_b32 s2, s3, s2
	v_add_u32_e32 v78, s30, v70
	s_sub_i32 s3, s2, s39
	v_add_u32_e32 v80, s30, v78
	s_cmp_ge_u32 s2, s39
	v_add_u32_e32 v82, s30, v80
	s_load_dwordx2 s[8:9], s[4:5], 0xc8
	s_load_dword s14, s[4:5], 0xd4
	s_cselect_b32 s2, s3, s2
	v_add_u32_e32 v84, s30, v82
	s_xor_b32 s2, s2, s10
	v_add_u32_e32 v86, s30, v84
	s_sub_i32 s2, s2, s10
	v_add_u32_e32 v88, s30, v86
	s_ashr_i32 s3, s2, 31
	v_add_u32_e32 v90, s30, v88
	s_waitcnt lgkmcnt(0)
	s_mul_i32 s3, s8, s3
	s_mul_hi_u32 s10, s8, s2
	v_add_u32_e32 v92, s30, v90
	s_add_i32 s3, s10, s3
	s_mul_i32 s9, s9, s2
	v_add_u32_e32 v94, s30, v92
	s_add_i32 s3, s3, s9
	s_mul_i32 s2, s8, s2
	v_add_u32_e32 v96, s30, v94
	s_add_u32 s2, s18, s2
	s_mul_i32 s8, s43, s6
	v_add_u32_e32 v98, s30, v96
	s_addc_u32 s3, s19, s3
	s_ashr_i32 s9, s8, 31
	v_add_u32_e32 v100, s30, v98
	s_add_u32 s8, s2, s8
	s_mov_b32 s23, s41
	v_mbcnt_hi_u32_b32 v21, -1, v50
	v_add_u32_e32 v102, s30, v100
	s_addc_u32 s9, s3, s9
	s_lshl_b64 s[2:3], s[22:23], 1
	v_and_b32_e32 v22, 0x7c, v21
	v_add_u32_e32 v104, s30, v102
	s_add_u32 s16, s8, s2
	v_add_u32_e32 v22, 4, v22
	v_xor_b32_e32 v23, 2, v21
	v_add_u32_e32 v106, s30, v104
	s_addc_u32 s17, s9, s3
	s_mul_i32 s2, s30, s22
	v_cmp_lt_i32_e32 vcc, v23, v22
	v_add_u32_e32 v108, s30, v106
	s_add_u32 s23, s28, s2
	v_cndmask_b32_e32 v23, v21, v23, vcc
	v_add_u32_e32 v110, s30, v108
	s_addc_u32 s28, s15, 0
	s_mul_i32 s2, s12, s22
	v_lshlrev_b32_e32 v58, 2, v23
	v_xor_b32_e32 v23, 1, v21
	v_add_u32_e32 v112, s30, v110
	s_add_u32 s29, s11, s2
	v_cmp_lt_i32_e32 vcc, v23, v22
	v_add_u32_e32 v114, s30, v112
	s_addc_u32 s31, s13, 0
	v_cndmask_b32_e32 v22, v21, v23, vcc
	v_add_u32_e32 v116, s30, v114
	v_lshlrev_b32_e32 v59, 2, v22
	s_cmp_lg_u64 s[18:19], 0
	v_and_b32_e32 v22, 0x60, v21
	v_add_u32_e32 v118, s30, v116
	s_cselect_b64 s[18:19], -1, 0
	v_add_u32_e32 v22, 32, v22
	s_lshl_b32 s40, s14, 7
	v_cmp_eq_u32_e64 s[2:3], 3, v19
	v_cmp_eq_u32_e64 s[14:15], 0, v19
	;; [unrolled: 1-line block ×4, first 2 shown]
	v_xor_b32_e32 v19, 4, v21
	v_add_u32_e32 v120, s30, v118
	v_and_b32_e32 v18, 0x7c, v0
	v_cmp_lt_i32_e32 vcc, v19, v22
	v_add_u32_e32 v122, s30, v120
	v_add_u32_e32 v56, v20, v18
	v_cndmask_b32_e32 v19, v21, v19, vcc
	v_add_u32_e32 v124, s30, v122
	v_mul_lo_u32 v60, v56, s12
	v_lshlrev_b32_e32 v68, 2, v19
	v_xor_b32_e32 v19, 8, v21
	v_add_u32_e32 v126, s30, v124
	v_cmp_lt_i32_e32 vcc, v19, v22
	v_add_u32_e32 v128, s30, v126
	v_cndmask_b32_e32 v19, v21, v19, vcc
	v_add_u32_e32 v130, s30, v128
	v_lshlrev_b32_e32 v69, 2, v19
	v_xor_b32_e32 v19, 16, v21
	v_add_u32_e32 v132, s30, v130
	v_add_u32_e32 v62, s12, v60
	v_cmp_lt_i32_e32 vcc, v19, v22
	v_add_u32_e32 v134, s30, v132
	v_add_u32_e32 v64, s12, v62
	v_cndmask_b32_e32 v19, v21, v19, vcc
	v_add_u32_e32 v136, s30, v134
	v_add_u32_e32 v66, s12, v64
	v_lshlrev_b32_e32 v71, 2, v19
	v_add_u32_e32 v19, 0x80, v54
	v_add_u32_e32 v138, s30, v136
	v_and_b32_e32 v57, 12, v54
	v_mov_b32_e32 v18, 0
	s_mul_i32 s39, s40, s12
	s_mul_i32 s42, s40, s30
	v_ashrrev_i32_e32 v61, 31, v60
	v_ashrrev_i32_e32 v63, 31, v62
	;; [unrolled: 1-line block ×4, first 2 shown]
	v_lshlrev_b32_e32 v72, 1, v20
	v_ashrrev_i32_e32 v73, 31, v70
	v_bfe_u32 v74, v0, 3, 27
	v_and_b32_e32 v75, 28, v54
	v_lshrrev_b32_e32 v76, 5, v19
	v_and_b32_e32 v77, 28, v19
	v_ashrrev_i32_e32 v79, 31, v78
	v_ashrrev_i32_e32 v81, 31, v80
	;; [unrolled: 1-line block ×9, first 2 shown]
	s_mov_b32 s43, 0x3fb8aa3b
	s_mov_b32 s44, 0xc2ce8ed0
	;; [unrolled: 1-line block ×4, first 2 shown]
	v_ashrrev_i32_e32 v97, 31, v96
	v_ashrrev_i32_e32 v99, 31, v98
	;; [unrolled: 1-line block ×22, first 2 shown]
	v_mov_b32_e32 v22, 0xfeffffff
	v_mov_b32_e32 v140, 0x7f800000
	;; [unrolled: 1-line block ×6, first 2 shown]
                                        ; implicit-def: $vgpr141
.LBB23_15:                              ; =>This Inner Loop Header: Depth=1
	v_mov_b32_e32 v24, s31
	v_add_co_u32_e32 v23, vcc, s29, v60
	v_addc_co_u32_e32 v24, vcc, v24, v61, vcc
	v_add_co_u32_e32 v25, vcc, v23, v57
	v_addc_co_u32_e32 v26, vcc, 0, v24, vcc
	global_load_dword v27, v[25:26], off offset:2
	global_load_dword v28, v[25:26], off offset:20
	;; [unrolled: 1-line block ×7, first 2 shown]
	s_nop 0
	global_load_dword v25, v[25:26], off offset:128
	s_nop 0
	global_load_ushort v26, v[23:24], off
	global_load_ushort v142, v[23:24], off offset:18
	global_load_ushort v143, v[23:24], off offset:36
	;; [unrolled: 1-line block ×6, first 2 shown]
	s_nop 0
	global_load_ushort v23, v[23:24], off offset:126
	s_and_b64 vcc, exec, s[18:19]
	s_waitcnt vmcnt(15)
	v_and_b32_e32 v24, 0xf0f0f0f, v27
	v_lshrrev_b32_e32 v27, 4, v27
	v_dot4_i32_i8 v24, v24, v34, 0
	v_and_b32_e32 v27, 0xf0f0f0f, v27
	s_waitcnt vmcnt(14)
	v_and_b32_e32 v148, 0xf0f0f0f, v28
	v_lshrrev_b32_e32 v28, 4, v28
	v_cvt_f32_i32_e32 v24, v24
	v_dot4_i32_i8 v27, v27, v35, 0
	v_dot4_i32_i8 v148, v148, v36, 0
	v_and_b32_e32 v28, 0xf0f0f0f, v28
	v_cvt_f32_i32_e32 v27, v27
	s_waitcnt vmcnt(13)
	v_and_b32_e32 v149, 0xf0f0f0f, v29
	v_lshrrev_b32_e32 v29, 4, v29
	v_cvt_f32_i32_e32 v148, v148
	v_dot4_i32_i8 v28, v28, v37, 0
	v_dot4_i32_i8 v149, v149, v38, 0
	v_and_b32_e32 v29, 0xf0f0f0f, v29
	v_cvt_f32_i32_e32 v28, v28
	s_waitcnt vmcnt(12)
	v_and_b32_e32 v150, 0xf0f0f0f, v30
	v_lshrrev_b32_e32 v30, 4, v30
	v_cvt_f32_i32_e32 v149, v149
	v_dot4_i32_i8 v29, v29, v39, 0
	v_fma_f32 v24, v2, v24, -v3
	v_dot4_i32_i8 v150, v150, v40, 0
	v_and_b32_e32 v30, 0xf0f0f0f, v30
	v_cvt_f32_i32_e32 v29, v29
	s_waitcnt vmcnt(7)
	v_fma_mix_f32 v24, v24, v26, 0 op_sel_hi:[0,1,0]
	v_fma_f32 v27, v2, v27, -v3
	v_and_b32_e32 v151, 0xf0f0f0f, v31
	v_lshrrev_b32_e32 v31, 4, v31
	v_dot4_i32_i8 v30, v30, v41, 0
	v_cvt_f32_i32_e32 v150, v150
	v_fma_f32 v148, v4, v148, -v5
	v_fma_mix_f32 v24, v27, v26, v24 op_sel_hi:[0,1,0]
	v_dot4_i32_i8 v151, v151, v42, 0
	v_and_b32_e32 v31, 0xf0f0f0f, v31
	v_cvt_f32_i32_e32 v30, v30
	v_fma_f32 v28, v4, v28, -v5
	s_waitcnt vmcnt(6)
	v_fma_mix_f32 v24, v148, v142, v24 op_sel_hi:[0,1,0]
	v_and_b32_e32 v152, 0xf0f0f0f, v32
	v_lshrrev_b32_e32 v32, 4, v32
	v_dot4_i32_i8 v31, v31, v43, 0
	v_cvt_f32_i32_e32 v151, v151
	v_fma_f32 v149, v6, v149, -v7
	v_fma_mix_f32 v24, v28, v142, v24 op_sel_hi:[0,1,0]
	v_dot4_i32_i8 v152, v152, v44, 0
	v_and_b32_e32 v32, 0xf0f0f0f, v32
	v_cvt_f32_i32_e32 v31, v31
	v_fma_f32 v29, v6, v29, -v7
	s_waitcnt vmcnt(5)
	v_fma_mix_f32 v24, v149, v143, v24 op_sel_hi:[0,1,0]
	;; [unrolled: 12-line block ×3, first 2 shown]
	v_and_b32_e32 v154, 0xf0f0f0f, v25
	v_dot4_i32_i8 v33, v33, v47, 0
	v_cvt_f32_i32_e32 v153, v153
	v_fma_f32 v151, v10, v151, -v11
	v_fma_mix_f32 v24, v30, v144, v24 op_sel_hi:[0,1,0]
	v_lshrrev_b32_e32 v25, 4, v25
	v_dot4_i32_i8 v154, v154, v48, 0
	v_cvt_f32_i32_e32 v33, v33
	v_fma_f32 v31, v10, v31, -v11
	s_waitcnt vmcnt(3)
	v_fma_mix_f32 v24, v151, v145, v24 op_sel_hi:[0,1,0]
	v_and_b32_e32 v25, 0xf0f0f0f, v25
	v_fma_f32 v152, v12, v152, -v13
	v_fma_mix_f32 v24, v31, v145, v24 op_sel_hi:[0,1,0]
	v_dot4_i32_i8 v25, v25, v49, 0
	v_cvt_f32_i32_e32 v26, v154
	v_fma_f32 v32, v12, v32, -v13
	s_waitcnt vmcnt(2)
	v_fma_mix_f32 v24, v152, v146, v24 op_sel_hi:[0,1,0]
	v_cvt_f32_i32_e32 v25, v25
	v_fma_f32 v153, v14, v153, -v15
	v_fma_mix_f32 v24, v32, v146, v24 op_sel_hi:[0,1,0]
	v_fma_f32 v33, v14, v33, -v15
	s_waitcnt vmcnt(1)
	v_fma_mix_f32 v24, v153, v147, v24 op_sel_hi:[0,1,0]
	v_fma_mix_f32 v24, v33, v147, v24 op_sel_hi:[0,1,0]
	v_fma_f32 v26, v16, v26, -v17
	v_fma_f32 v25, v16, v25, -v17
	s_waitcnt vmcnt(0)
	v_fma_mix_f32 v24, v26, v23, v24 op_sel_hi:[0,1,0]
	v_fma_mix_f32 v23, v25, v23, v24 op_sel_hi:[0,1,0]
	ds_bpermute_b32 v24, v58, v23
	s_waitcnt lgkmcnt(0)
	v_add_f32_e32 v23, v23, v24
	ds_bpermute_b32 v24, v59, v23
	s_waitcnt lgkmcnt(0)
	v_add_f32_e32 v23, v23, v24
	v_lshlrev_b32_e32 v24, 1, v56
	s_cbranch_vccz .LBB23_17
; %bb.16:                               ;   in Loop: Header=BB23_15 Depth=1
	global_load_ushort v25, v24, s[16:17]
	s_waitcnt vmcnt(0)
	v_fma_mix_f32 v23, v51, v25, v23 op_sel_hi:[0,1,0]
.LBB23_17:                              ;   in Loop: Header=BB23_15 Depth=1
	v_mov_b32_e32 v26, s31
	v_add_co_u32_e32 v25, vcc, s29, v62
	v_addc_co_u32_e32 v26, vcc, v26, v63, vcc
	v_add_co_u32_e32 v27, vcc, v25, v57
	v_addc_co_u32_e32 v28, vcc, 0, v26, vcc
	global_load_dword v29, v[27:28], off offset:2
	global_load_dword v30, v[27:28], off offset:20
	;; [unrolled: 1-line block ×7, first 2 shown]
	s_nop 0
	global_load_dword v27, v[27:28], off offset:128
	s_nop 0
	global_load_ushort v28, v[25:26], off
	global_load_ushort v144, v[25:26], off offset:18
	global_load_ushort v145, v[25:26], off offset:36
	;; [unrolled: 1-line block ×6, first 2 shown]
	s_nop 0
	global_load_ushort v25, v[25:26], off offset:126
	s_andn2_b64 vcc, exec, s[18:19]
	s_waitcnt vmcnt(15)
	v_and_b32_e32 v26, 0xf0f0f0f, v29
	v_lshrrev_b32_e32 v29, 4, v29
	v_dot4_i32_i8 v26, v26, v34, 0
	v_and_b32_e32 v29, 0xf0f0f0f, v29
	s_waitcnt vmcnt(14)
	v_and_b32_e32 v150, 0xf0f0f0f, v30
	v_lshrrev_b32_e32 v30, 4, v30
	v_cvt_f32_i32_e32 v26, v26
	v_dot4_i32_i8 v29, v29, v35, 0
	v_dot4_i32_i8 v150, v150, v36, 0
	v_and_b32_e32 v30, 0xf0f0f0f, v30
	v_cvt_f32_i32_e32 v29, v29
	s_waitcnt vmcnt(13)
	v_and_b32_e32 v151, 0xf0f0f0f, v31
	v_lshrrev_b32_e32 v31, 4, v31
	v_cvt_f32_i32_e32 v150, v150
	v_dot4_i32_i8 v30, v30, v37, 0
	v_dot4_i32_i8 v151, v151, v38, 0
	v_and_b32_e32 v31, 0xf0f0f0f, v31
	v_cvt_f32_i32_e32 v30, v30
	s_waitcnt vmcnt(12)
	v_and_b32_e32 v152, 0xf0f0f0f, v32
	v_lshrrev_b32_e32 v32, 4, v32
	v_cvt_f32_i32_e32 v151, v151
	v_dot4_i32_i8 v31, v31, v39, 0
	v_fma_f32 v26, v2, v26, -v3
	v_dot4_i32_i8 v152, v152, v40, 0
	v_and_b32_e32 v32, 0xf0f0f0f, v32
	v_cvt_f32_i32_e32 v31, v31
	s_waitcnt vmcnt(7)
	v_fma_mix_f32 v26, v26, v28, 0 op_sel_hi:[0,1,0]
	v_fma_f32 v29, v2, v29, -v3
	v_and_b32_e32 v153, 0xf0f0f0f, v33
	v_lshrrev_b32_e32 v33, 4, v33
	v_dot4_i32_i8 v32, v32, v41, 0
	v_cvt_f32_i32_e32 v152, v152
	v_fma_f32 v150, v4, v150, -v5
	v_fma_mix_f32 v26, v29, v28, v26 op_sel_hi:[0,1,0]
	v_dot4_i32_i8 v153, v153, v42, 0
	v_and_b32_e32 v33, 0xf0f0f0f, v33
	v_cvt_f32_i32_e32 v32, v32
	v_fma_f32 v30, v4, v30, -v5
	s_waitcnt vmcnt(6)
	v_fma_mix_f32 v26, v150, v144, v26 op_sel_hi:[0,1,0]
	v_and_b32_e32 v154, 0xf0f0f0f, v142
	v_lshrrev_b32_e32 v142, 4, v142
	v_dot4_i32_i8 v33, v33, v43, 0
	v_cvt_f32_i32_e32 v153, v153
	v_fma_f32 v151, v6, v151, -v7
	v_fma_mix_f32 v26, v30, v144, v26 op_sel_hi:[0,1,0]
	v_dot4_i32_i8 v154, v154, v44, 0
	v_and_b32_e32 v142, 0xf0f0f0f, v142
	v_cvt_f32_i32_e32 v33, v33
	v_fma_f32 v31, v6, v31, -v7
	s_waitcnt vmcnt(5)
	v_fma_mix_f32 v26, v151, v145, v26 op_sel_hi:[0,1,0]
	;; [unrolled: 12-line block ×3, first 2 shown]
	v_and_b32_e32 v156, 0xf0f0f0f, v27
	v_dot4_i32_i8 v143, v143, v47, 0
	v_cvt_f32_i32_e32 v155, v155
	v_fma_f32 v153, v10, v153, -v11
	v_fma_mix_f32 v26, v32, v146, v26 op_sel_hi:[0,1,0]
	v_lshrrev_b32_e32 v27, 4, v27
	v_dot4_i32_i8 v156, v156, v48, 0
	v_cvt_f32_i32_e32 v143, v143
	v_fma_f32 v33, v10, v33, -v11
	s_waitcnt vmcnt(3)
	v_fma_mix_f32 v26, v153, v147, v26 op_sel_hi:[0,1,0]
	v_and_b32_e32 v27, 0xf0f0f0f, v27
	v_fma_f32 v154, v12, v154, -v13
	v_fma_mix_f32 v26, v33, v147, v26 op_sel_hi:[0,1,0]
	v_dot4_i32_i8 v27, v27, v49, 0
	v_cvt_f32_i32_e32 v28, v156
	v_fma_f32 v142, v12, v142, -v13
	s_waitcnt vmcnt(2)
	v_fma_mix_f32 v26, v154, v148, v26 op_sel_hi:[0,1,0]
	v_cvt_f32_i32_e32 v27, v27
	v_fma_f32 v155, v14, v155, -v15
	v_fma_mix_f32 v26, v142, v148, v26 op_sel_hi:[0,1,0]
	v_fma_f32 v143, v14, v143, -v15
	s_waitcnt vmcnt(1)
	v_fma_mix_f32 v26, v155, v149, v26 op_sel_hi:[0,1,0]
	v_fma_mix_f32 v26, v143, v149, v26 op_sel_hi:[0,1,0]
	v_fma_f32 v28, v16, v28, -v17
	v_fma_f32 v27, v16, v27, -v17
	s_waitcnt vmcnt(0)
	v_fma_mix_f32 v26, v28, v25, v26 op_sel_hi:[0,1,0]
	v_fma_mix_f32 v25, v27, v25, v26 op_sel_hi:[0,1,0]
	ds_bpermute_b32 v26, v58, v25
	v_cndmask_b32_e64 v27, 0, 1, s[18:19]
	v_cmp_ne_u32_e64 s[12:13], 1, v27
	s_waitcnt lgkmcnt(0)
	v_add_f32_e32 v25, v25, v26
	ds_bpermute_b32 v26, v59, v25
	s_waitcnt lgkmcnt(0)
	v_add_f32_e32 v25, v25, v26
	s_cbranch_vccnz .LBB23_19
; %bb.18:                               ;   in Loop: Header=BB23_15 Depth=1
	global_load_ushort v26, v24, s[16:17] offset:2
	s_waitcnt vmcnt(0)
	v_fma_mix_f32 v25, v51, v26, v25 op_sel_hi:[0,1,0]
.LBB23_19:                              ;   in Loop: Header=BB23_15 Depth=1
	v_mov_b32_e32 v27, s31
	v_add_co_u32_e32 v26, vcc, s29, v64
	v_addc_co_u32_e32 v27, vcc, v27, v65, vcc
	v_add_co_u32_e32 v28, vcc, v26, v57
	v_addc_co_u32_e32 v29, vcc, 0, v27, vcc
	global_load_dword v30, v[28:29], off offset:2
	global_load_dword v31, v[28:29], off offset:20
	;; [unrolled: 1-line block ×7, first 2 shown]
	s_nop 0
	global_load_dword v28, v[28:29], off offset:128
	s_nop 0
	global_load_ushort v29, v[26:27], off
	global_load_ushort v145, v[26:27], off offset:18
	global_load_ushort v146, v[26:27], off offset:36
	global_load_ushort v147, v[26:27], off offset:54
	global_load_ushort v148, v[26:27], off offset:72
	global_load_ushort v149, v[26:27], off offset:90
	global_load_ushort v150, v[26:27], off offset:108
	s_nop 0
	global_load_ushort v26, v[26:27], off offset:126
	s_and_b64 vcc, exec, s[12:13]
	s_waitcnt vmcnt(15)
	v_and_b32_e32 v27, 0xf0f0f0f, v30
	v_lshrrev_b32_e32 v30, 4, v30
	v_dot4_i32_i8 v27, v27, v34, 0
	v_and_b32_e32 v30, 0xf0f0f0f, v30
	s_waitcnt vmcnt(14)
	v_and_b32_e32 v151, 0xf0f0f0f, v31
	v_lshrrev_b32_e32 v31, 4, v31
	v_cvt_f32_i32_e32 v27, v27
	v_dot4_i32_i8 v30, v30, v35, 0
	v_dot4_i32_i8 v151, v151, v36, 0
	v_and_b32_e32 v31, 0xf0f0f0f, v31
	v_cvt_f32_i32_e32 v30, v30
	s_waitcnt vmcnt(13)
	v_and_b32_e32 v152, 0xf0f0f0f, v32
	v_lshrrev_b32_e32 v32, 4, v32
	v_cvt_f32_i32_e32 v151, v151
	v_dot4_i32_i8 v31, v31, v37, 0
	v_dot4_i32_i8 v152, v152, v38, 0
	v_and_b32_e32 v32, 0xf0f0f0f, v32
	v_cvt_f32_i32_e32 v31, v31
	s_waitcnt vmcnt(12)
	v_and_b32_e32 v153, 0xf0f0f0f, v33
	v_lshrrev_b32_e32 v33, 4, v33
	v_cvt_f32_i32_e32 v152, v152
	v_dot4_i32_i8 v32, v32, v39, 0
	v_fma_f32 v27, v2, v27, -v3
	v_dot4_i32_i8 v153, v153, v40, 0
	v_and_b32_e32 v33, 0xf0f0f0f, v33
	v_cvt_f32_i32_e32 v32, v32
	s_waitcnt vmcnt(7)
	v_fma_mix_f32 v27, v27, v29, 0 op_sel_hi:[0,1,0]
	v_fma_f32 v30, v2, v30, -v3
	v_and_b32_e32 v154, 0xf0f0f0f, v142
	v_lshrrev_b32_e32 v142, 4, v142
	v_dot4_i32_i8 v33, v33, v41, 0
	v_cvt_f32_i32_e32 v153, v153
	v_fma_f32 v151, v4, v151, -v5
	v_fma_mix_f32 v27, v30, v29, v27 op_sel_hi:[0,1,0]
	v_dot4_i32_i8 v154, v154, v42, 0
	v_and_b32_e32 v142, 0xf0f0f0f, v142
	v_cvt_f32_i32_e32 v33, v33
	v_fma_f32 v31, v4, v31, -v5
	s_waitcnt vmcnt(6)
	v_fma_mix_f32 v27, v151, v145, v27 op_sel_hi:[0,1,0]
	v_and_b32_e32 v155, 0xf0f0f0f, v143
	v_lshrrev_b32_e32 v143, 4, v143
	v_dot4_i32_i8 v142, v142, v43, 0
	v_cvt_f32_i32_e32 v154, v154
	v_fma_f32 v152, v6, v152, -v7
	v_fma_mix_f32 v27, v31, v145, v27 op_sel_hi:[0,1,0]
	v_dot4_i32_i8 v155, v155, v44, 0
	v_and_b32_e32 v143, 0xf0f0f0f, v143
	v_cvt_f32_i32_e32 v142, v142
	v_fma_f32 v32, v6, v32, -v7
	s_waitcnt vmcnt(5)
	v_fma_mix_f32 v27, v152, v146, v27 op_sel_hi:[0,1,0]
	;; [unrolled: 12-line block ×3, first 2 shown]
	v_and_b32_e32 v157, 0xf0f0f0f, v28
	v_dot4_i32_i8 v144, v144, v47, 0
	v_cvt_f32_i32_e32 v156, v156
	v_fma_f32 v154, v10, v154, -v11
	v_fma_mix_f32 v27, v33, v147, v27 op_sel_hi:[0,1,0]
	v_lshrrev_b32_e32 v28, 4, v28
	v_dot4_i32_i8 v157, v157, v48, 0
	v_cvt_f32_i32_e32 v144, v144
	v_fma_f32 v142, v10, v142, -v11
	s_waitcnt vmcnt(3)
	v_fma_mix_f32 v27, v154, v148, v27 op_sel_hi:[0,1,0]
	v_and_b32_e32 v28, 0xf0f0f0f, v28
	v_fma_f32 v155, v12, v155, -v13
	v_fma_mix_f32 v27, v142, v148, v27 op_sel_hi:[0,1,0]
	v_dot4_i32_i8 v28, v28, v49, 0
	v_cvt_f32_i32_e32 v29, v157
	v_fma_f32 v143, v12, v143, -v13
	s_waitcnt vmcnt(2)
	v_fma_mix_f32 v27, v155, v149, v27 op_sel_hi:[0,1,0]
	v_cvt_f32_i32_e32 v28, v28
	v_fma_f32 v156, v14, v156, -v15
	v_fma_mix_f32 v27, v143, v149, v27 op_sel_hi:[0,1,0]
	v_fma_f32 v144, v14, v144, -v15
	s_waitcnt vmcnt(1)
	v_fma_mix_f32 v27, v156, v150, v27 op_sel_hi:[0,1,0]
	v_fma_mix_f32 v27, v144, v150, v27 op_sel_hi:[0,1,0]
	v_fma_f32 v29, v16, v29, -v17
	v_fma_f32 v28, v16, v28, -v17
	s_waitcnt vmcnt(0)
	v_fma_mix_f32 v27, v29, v26, v27 op_sel_hi:[0,1,0]
	v_fma_mix_f32 v26, v28, v26, v27 op_sel_hi:[0,1,0]
	ds_bpermute_b32 v27, v58, v26
	s_waitcnt lgkmcnt(0)
	v_add_f32_e32 v26, v26, v27
	ds_bpermute_b32 v27, v59, v26
	s_waitcnt lgkmcnt(0)
	v_add_f32_e32 v26, v26, v27
	s_cbranch_vccnz .LBB23_21
; %bb.20:                               ;   in Loop: Header=BB23_15 Depth=1
	global_load_ushort v27, v24, s[16:17] offset:4
	s_waitcnt vmcnt(0)
	v_fma_mix_f32 v26, v51, v27, v26 op_sel_hi:[0,1,0]
.LBB23_21:                              ;   in Loop: Header=BB23_15 Depth=1
	v_mov_b32_e32 v28, s31
	v_add_co_u32_e32 v27, vcc, s29, v66
	v_addc_co_u32_e32 v28, vcc, v28, v67, vcc
	v_add_co_u32_e32 v29, vcc, v27, v57
	v_addc_co_u32_e32 v30, vcc, 0, v28, vcc
	global_load_dword v31, v[29:30], off offset:2
	global_load_dword v32, v[29:30], off offset:20
	;; [unrolled: 1-line block ×7, first 2 shown]
	s_nop 0
	global_load_dword v29, v[29:30], off offset:128
	s_nop 0
	global_load_ushort v30, v[27:28], off
	global_load_ushort v146, v[27:28], off offset:18
	global_load_ushort v147, v[27:28], off offset:36
	;; [unrolled: 1-line block ×6, first 2 shown]
	s_nop 0
	global_load_ushort v27, v[27:28], off offset:126
	s_and_b64 vcc, exec, s[12:13]
	s_waitcnt vmcnt(15)
	v_and_b32_e32 v28, 0xf0f0f0f, v31
	v_lshrrev_b32_e32 v31, 4, v31
	v_dot4_i32_i8 v28, v28, v34, 0
	v_and_b32_e32 v31, 0xf0f0f0f, v31
	s_waitcnt vmcnt(14)
	v_and_b32_e32 v152, 0xf0f0f0f, v32
	v_lshrrev_b32_e32 v32, 4, v32
	v_cvt_f32_i32_e32 v28, v28
	v_dot4_i32_i8 v31, v31, v35, 0
	v_dot4_i32_i8 v152, v152, v36, 0
	v_and_b32_e32 v32, 0xf0f0f0f, v32
	v_cvt_f32_i32_e32 v31, v31
	s_waitcnt vmcnt(13)
	v_and_b32_e32 v153, 0xf0f0f0f, v33
	v_lshrrev_b32_e32 v33, 4, v33
	v_cvt_f32_i32_e32 v152, v152
	v_dot4_i32_i8 v32, v32, v37, 0
	v_dot4_i32_i8 v153, v153, v38, 0
	v_and_b32_e32 v33, 0xf0f0f0f, v33
	v_cvt_f32_i32_e32 v32, v32
	s_waitcnt vmcnt(12)
	v_and_b32_e32 v154, 0xf0f0f0f, v142
	v_lshrrev_b32_e32 v142, 4, v142
	v_cvt_f32_i32_e32 v153, v153
	v_dot4_i32_i8 v33, v33, v39, 0
	v_fma_f32 v28, v2, v28, -v3
	v_dot4_i32_i8 v154, v154, v40, 0
	v_and_b32_e32 v142, 0xf0f0f0f, v142
	v_cvt_f32_i32_e32 v33, v33
	s_waitcnt vmcnt(7)
	v_fma_mix_f32 v28, v28, v30, 0 op_sel_hi:[0,1,0]
	v_fma_f32 v31, v2, v31, -v3
	v_and_b32_e32 v155, 0xf0f0f0f, v143
	v_lshrrev_b32_e32 v143, 4, v143
	v_dot4_i32_i8 v142, v142, v41, 0
	v_cvt_f32_i32_e32 v154, v154
	v_fma_f32 v152, v4, v152, -v5
	v_fma_mix_f32 v28, v31, v30, v28 op_sel_hi:[0,1,0]
	v_dot4_i32_i8 v155, v155, v42, 0
	v_and_b32_e32 v143, 0xf0f0f0f, v143
	v_cvt_f32_i32_e32 v142, v142
	v_fma_f32 v32, v4, v32, -v5
	s_waitcnt vmcnt(6)
	v_fma_mix_f32 v28, v152, v146, v28 op_sel_hi:[0,1,0]
	v_and_b32_e32 v156, 0xf0f0f0f, v144
	v_lshrrev_b32_e32 v144, 4, v144
	v_dot4_i32_i8 v143, v143, v43, 0
	v_cvt_f32_i32_e32 v155, v155
	v_fma_f32 v153, v6, v153, -v7
	v_fma_mix_f32 v28, v32, v146, v28 op_sel_hi:[0,1,0]
	v_dot4_i32_i8 v156, v156, v44, 0
	v_and_b32_e32 v144, 0xf0f0f0f, v144
	v_cvt_f32_i32_e32 v143, v143
	v_fma_f32 v33, v6, v33, -v7
	s_waitcnt vmcnt(5)
	v_fma_mix_f32 v28, v153, v147, v28 op_sel_hi:[0,1,0]
	;; [unrolled: 12-line block ×3, first 2 shown]
	v_and_b32_e32 v158, 0xf0f0f0f, v29
	v_dot4_i32_i8 v145, v145, v47, 0
	v_cvt_f32_i32_e32 v157, v157
	v_fma_f32 v155, v10, v155, -v11
	v_fma_mix_f32 v28, v142, v148, v28 op_sel_hi:[0,1,0]
	v_lshrrev_b32_e32 v29, 4, v29
	v_dot4_i32_i8 v158, v158, v48, 0
	v_cvt_f32_i32_e32 v145, v145
	v_fma_f32 v143, v10, v143, -v11
	s_waitcnt vmcnt(3)
	v_fma_mix_f32 v28, v155, v149, v28 op_sel_hi:[0,1,0]
	v_and_b32_e32 v29, 0xf0f0f0f, v29
	v_fma_f32 v156, v12, v156, -v13
	v_fma_mix_f32 v28, v143, v149, v28 op_sel_hi:[0,1,0]
	v_dot4_i32_i8 v29, v29, v49, 0
	v_cvt_f32_i32_e32 v30, v158
	v_fma_f32 v144, v12, v144, -v13
	s_waitcnt vmcnt(2)
	v_fma_mix_f32 v28, v156, v150, v28 op_sel_hi:[0,1,0]
	v_cvt_f32_i32_e32 v29, v29
	v_fma_f32 v157, v14, v157, -v15
	v_fma_mix_f32 v28, v144, v150, v28 op_sel_hi:[0,1,0]
	v_fma_f32 v145, v14, v145, -v15
	s_waitcnt vmcnt(1)
	v_fma_mix_f32 v28, v157, v151, v28 op_sel_hi:[0,1,0]
	v_fma_mix_f32 v28, v145, v151, v28 op_sel_hi:[0,1,0]
	v_fma_f32 v30, v16, v30, -v17
	v_fma_f32 v29, v16, v29, -v17
	s_waitcnt vmcnt(0)
	v_fma_mix_f32 v28, v30, v27, v28 op_sel_hi:[0,1,0]
	v_fma_mix_f32 v27, v29, v27, v28 op_sel_hi:[0,1,0]
	ds_bpermute_b32 v28, v58, v27
	s_waitcnt lgkmcnt(0)
	v_add_f32_e32 v27, v27, v28
	ds_bpermute_b32 v28, v59, v27
	s_waitcnt lgkmcnt(0)
	v_add_f32_e32 v27, v27, v28
	s_cbranch_vccnz .LBB23_23
; %bb.22:                               ;   in Loop: Header=BB23_15 Depth=1
	global_load_ushort v24, v24, s[16:17] offset:6
	s_waitcnt vmcnt(0)
	v_fma_mix_f32 v27, v51, v24, v27 op_sel_hi:[0,1,0]
.LBB23_23:                              ;   in Loop: Header=BB23_15 Depth=1
	v_add_f32_e32 v24, 0x40051340, v23
	v_add_f32_e32 v28, 0x40051340, v25
	v_max3_f32 v24, v22, v24, v28
	v_add_f32_e32 v28, 0x40051340, v26
	v_add_f32_e32 v29, 0x40051340, v27
	v_max3_f32 v24, v24, v28, v29
	ds_bpermute_b32 v28, v68, v24
	v_cndmask_b32_e64 v30, v141, v23, s[14:15]
	v_mov_b32_e32 v144, s28
	v_add_co_u32_e32 v31, vcc, s23, v70
	s_waitcnt lgkmcnt(0)
	v_max_f32_e32 v28, v28, v28
	v_max_f32_e32 v24, v24, v28
	ds_bpermute_b32 v28, v69, v24
	v_mul_u32_u24_e32 v145, 34, v74
	v_addc_co_u32_e32 v32, vcc, v144, v73, vcc
	v_mul_hi_u32_u24_e32 v143, 34, v74
	s_waitcnt lgkmcnt(0)
	v_max_f32_e32 v23, v28, v28
	v_max_f32_e32 v23, v24, v23
	ds_bpermute_b32 v24, v71, v23
	v_mul_u32_u24_e32 v147, 34, v76
	v_mul_hi_u32_u24_e32 v146, 34, v76
	v_cndmask_b32_e64 v25, v30, v25, s[8:9]
	v_cndmask_b32_e64 v25, v25, v26, s[10:11]
	s_waitcnt lgkmcnt(0)
	v_max_f32_e32 v24, v24, v24
	v_max_f32_e32 v142, v23, v24
	v_sub_f32_e32 v24, v22, v142
	v_add_co_u32_e32 v22, vcc, v31, v145
	v_addc_co_u32_e32 v23, vcc, v32, v143, vcc
	v_add_co_u32_e32 v28, vcc, v22, v75
	v_addc_co_u32_e32 v29, vcc, 0, v23, vcc
	global_load_ushort v148, v[22:23], off
	global_load_dword v149, v[28:29], off offset:2
	v_add_co_u32_e32 v22, vcc, v31, v147
	v_addc_co_u32_e32 v23, vcc, v32, v146, vcc
	v_add_co_u32_e32 v28, vcc, v22, v77
	v_addc_co_u32_e32 v29, vcc, 0, v23, vcc
	global_load_ushort v151, v[22:23], off
	global_load_dword v152, v[28:29], off offset:2
	v_mul_f32_e32 v33, 0x3fb8aa3b, v24
	v_fma_f32 v141, v24, s43, -v33
	v_rndne_f32_e32 v150, v33
	v_fmac_f32_e32 v141, 0x32a5705f, v24
	v_sub_f32_e32 v33, v33, v150
	v_add_f32_e32 v22, v33, v141
	v_exp_f32_e32 v22, v22
	v_cvt_i32_f32_e32 v23, v150
	v_cndmask_b32_e64 v25, v25, v27, s[2:3]
	v_cmp_ngt_f32_e32 vcc, s44, v24
	s_add_i32 s22, s40, s22
	v_ldexp_f32 v22, v22, v23
	v_sub_f32_e32 v23, v25, v142
	v_mul_f32_e32 v25, 0x3fb8aa3b, v23
	v_fma_f32 v26, v23, s43, -v25
	v_rndne_f32_e32 v27, v25
	v_fmac_f32_e32 v26, 0x32a5705f, v23
	v_sub_f32_e32 v25, v25, v27
	v_add_f32_e32 v25, v25, v26
	v_exp_f32_e32 v25, v25
	v_cvt_i32_f32_e32 v26, v27
	v_cndmask_b32_e32 v22, 0, v22, vcc
	v_cmp_nlt_f32_e32 vcc, s45, v24
	v_cndmask_b32_e32 v27, v140, v22, vcc
	v_ldexp_f32 v22, v25, v26
	v_cmp_ngt_f32_e32 vcc, s44, v23
	v_cndmask_b32_e32 v22, 0, v22, vcc
	v_cmp_nlt_f32_e32 vcc, s45, v23
	v_cndmask_b32_e32 v141, v140, v22, vcc
	v_add_co_u32_e32 v28, vcc, s23, v78
	v_addc_co_u32_e32 v29, vcc, v144, v79, vcc
	v_add_co_u32_e32 v22, vcc, v28, v145
	v_addc_co_u32_e32 v23, vcc, v29, v143, vcc
	;; [unrolled: 2-line block ×3, first 2 shown]
	global_load_ushort v153, v[22:23], off
	global_load_dword v154, v[24:25], off offset:2
	v_cvt_f16_f32_e32 v26, v27
	v_cvt_f16_f32_e32 v25, v141
	v_fma_f32 v55, v55, v27, v141
	s_add_u32 s29, s29, s39
	v_mul_u32_u24_e32 v24, 0x10001, v26
	v_pk_mul_f16 v150, v20, v24
	v_add_co_u32_e32 v20, vcc, v28, v147
	v_pk_mul_f16 v155, v21, v24
	v_addc_co_u32_e32 v21, vcc, v29, v146, vcc
	v_add_co_u32_e32 v22, vcc, v20, v77
	v_addc_co_u32_e32 v23, vcc, 0, v21, vcc
	global_load_ushort v156, v[20:21], off
	global_load_dword v157, v[22:23], off offset:2
	ds_write_b16 v53, v25
	ds_read_b128 v[30:33], v72
	v_add_co_u32_e32 v165, vcc, s23, v80
	v_addc_co_u32_e32 v166, vcc, v144, v81, vcc
	s_waitcnt lgkmcnt(0)
	v_mul_u32_u24_sdwa v160, v30, s46 dst_sel:DWORD dst_unused:UNUSED_PAD src0_sel:WORD_0 src1_sel:DWORD
	v_pk_mul_f16 v158, v19, v24
	v_pk_mul_f16 v159, v18, v24
	ds_read_b128 v[26:29], v72 offset:16
	ds_read_b128 v[22:25], v72 offset:32
	;; [unrolled: 1-line block ×3, first 2 shown]
	v_mul_u32_u24_sdwa v30, v30, s46 dst_sel:DWORD dst_unused:UNUSED_PAD src0_sel:WORD_1 src1_sel:DWORD
	s_waitcnt vmcnt(7)
	v_mul_u32_u24_e32 v148, 0x10001, v148
	s_waitcnt vmcnt(6)
	v_pk_lshrrev_b16 v161, 8, v149 op_sel:[1,0] op_sel_hi:[0,0]
	v_lshrrev_b32_e32 v162, 16, v161
	v_cvt_f16_i16_sdwa v161, sext(v161) dst_sel:DWORD dst_unused:UNUSED_PAD src0_sel:BYTE_0
	v_cvt_f16_i16_sdwa v162, sext(v162) dst_sel:DWORD dst_unused:UNUSED_PAD src0_sel:BYTE_0
	v_pk_lshrrev_b16 v149, 8, v149 op_sel:[1,1] op_sel_hi:[0,1]
	v_pack_b32_f16 v161, v161, v162
	v_lshrrev_b32_e32 v162, 16, v149
	v_cvt_f16_i16_sdwa v149, sext(v149) dst_sel:DWORD dst_unused:UNUSED_PAD src0_sel:BYTE_0
	v_cvt_f16_i16_sdwa v162, sext(v162) dst_sel:DWORD dst_unused:UNUSED_PAD src0_sel:BYTE_0
	v_pack_b32_f16 v149, v149, v162
	v_pk_mul_f16 v161, v161, v148
	v_pk_mul_f16 v148, v149, v148
	v_pk_fma_f16 v155, v148, v160, v155
	v_add_co_u32_e32 v148, vcc, v165, v145
	v_addc_co_u32_e32 v149, vcc, v166, v143, vcc
	v_pk_fma_f16 v161, v161, v160, v150
	v_add_co_u32_e32 v150, vcc, v148, v75
	s_waitcnt vmcnt(5)
	v_mul_u32_u24_e32 v162, 0x10001, v151
	v_addc_co_u32_e32 v151, vcc, 0, v149, vcc
	global_load_ushort v167, v[148:149], off
	global_load_dword v168, v[150:151], off offset:2
	s_waitcnt vmcnt(6)
	v_pk_lshrrev_b16 v163, 8, v152 op_sel:[1,0] op_sel_hi:[0,0]
	v_lshrrev_b32_e32 v164, 16, v163
	v_cvt_f16_i16_sdwa v148, sext(v163) dst_sel:DWORD dst_unused:UNUSED_PAD src0_sel:BYTE_0
	v_cvt_f16_i16_sdwa v149, sext(v164) dst_sel:DWORD dst_unused:UNUSED_PAD src0_sel:BYTE_0
	v_pack_b32_f16 v148, v148, v149
	v_pk_mul_f16 v163, v148, v162
	v_add_co_u32_e32 v148, vcc, v165, v147
	v_addc_co_u32_e32 v149, vcc, v166, v146, vcc
	v_add_co_u32_e32 v150, vcc, v148, v77
	v_addc_co_u32_e32 v151, vcc, 0, v149, vcc
	global_load_ushort v164, v[148:149], off
	global_load_dword v165, v[150:151], off offset:2
	v_pk_lshrrev_b16 v152, 8, v152 op_sel:[1,1] op_sel_hi:[0,1]
	v_lshrrev_b32_e32 v148, 16, v152
	v_cvt_f16_i16_sdwa v149, sext(v152) dst_sel:DWORD dst_unused:UNUSED_PAD src0_sel:BYTE_0
	v_cvt_f16_i16_sdwa v148, sext(v148) dst_sel:DWORD dst_unused:UNUSED_PAD src0_sel:BYTE_0
	v_pack_b32_f16 v148, v149, v148
	v_pk_mul_f16 v148, v148, v162
	v_pk_fma_f16 v152, v163, v160, v158
	v_pk_fma_f16 v158, v148, v160, v159
	v_add_co_u32_e32 v160, vcc, s23, v82
	s_addc_u32 s31, s31, 0
	s_waitcnt vmcnt(7)
	v_mul_u32_u24_e32 v148, 0x10001, v153
	s_waitcnt vmcnt(6)
	v_pk_lshrrev_b16 v149, 8, v154 op_sel:[1,0] op_sel_hi:[0,0]
	v_lshrrev_b32_e32 v150, 16, v149
	v_cvt_f16_i16_sdwa v149, sext(v149) dst_sel:DWORD dst_unused:UNUSED_PAD src0_sel:BYTE_0
	v_cvt_f16_i16_sdwa v150, sext(v150) dst_sel:DWORD dst_unused:UNUSED_PAD src0_sel:BYTE_0
	v_pack_b32_f16 v149, v149, v150
	v_pk_lshrrev_b16 v150, 8, v154 op_sel:[1,1] op_sel_hi:[0,1]
	v_lshrrev_b32_e32 v151, 16, v150
	v_cvt_f16_i16_sdwa v150, sext(v150) dst_sel:DWORD dst_unused:UNUSED_PAD src0_sel:BYTE_0
	v_cvt_f16_i16_sdwa v151, sext(v151) dst_sel:DWORD dst_unused:UNUSED_PAD src0_sel:BYTE_0
	v_pk_mul_f16 v149, v149, v148
	v_pack_b32_f16 v150, v150, v151
	v_pk_mul_f16 v148, v150, v148
	v_pk_fma_f16 v153, v149, v30, v161
	v_addc_co_u32_e32 v161, vcc, v144, v83, vcc
	v_pk_fma_f16 v154, v148, v30, v155
	v_add_co_u32_e32 v148, vcc, v160, v145
	v_addc_co_u32_e32 v149, vcc, v161, v143, vcc
	v_add_co_u32_e32 v150, vcc, v148, v75
	s_waitcnt vmcnt(5)
	v_mul_u32_u24_e32 v155, 0x10001, v156
	s_waitcnt vmcnt(4)
	v_pk_lshrrev_b16 v156, 8, v157 op_sel:[1,0] op_sel_hi:[0,0]
	v_addc_co_u32_e32 v151, vcc, 0, v149, vcc
	global_load_ushort v162, v[148:149], off
	global_load_dword v163, v[150:151], off offset:2
	v_lshrrev_b32_e32 v159, 16, v156
	v_cvt_f16_i16_sdwa v148, sext(v156) dst_sel:DWORD dst_unused:UNUSED_PAD src0_sel:BYTE_0
	v_cvt_f16_i16_sdwa v149, sext(v159) dst_sel:DWORD dst_unused:UNUSED_PAD src0_sel:BYTE_0
	v_pack_b32_f16 v148, v148, v149
	v_pk_mul_f16 v156, v148, v155
	v_add_co_u32_e32 v148, vcc, v160, v147
	v_addc_co_u32_e32 v149, vcc, v161, v146, vcc
	v_add_co_u32_e32 v150, vcc, v148, v77
	v_addc_co_u32_e32 v151, vcc, 0, v149, vcc
	global_load_ushort v159, v[148:149], off
	global_load_dword v160, v[150:151], off offset:2
	v_pk_lshrrev_b16 v157, 8, v157 op_sel:[1,1] op_sel_hi:[0,1]
	v_lshrrev_b32_e32 v148, 16, v157
	v_cvt_f16_i16_sdwa v149, sext(v157) dst_sel:DWORD dst_unused:UNUSED_PAD src0_sel:BYTE_0
	v_cvt_f16_i16_sdwa v148, sext(v148) dst_sel:DWORD dst_unused:UNUSED_PAD src0_sel:BYTE_0
	v_pack_b32_f16 v148, v149, v148
	v_pk_mul_f16 v148, v148, v155
	v_pk_fma_f16 v152, v156, v30, v152
	v_pk_fma_f16 v30, v148, v30, v158
	v_add_co_u32_e32 v161, vcc, s23, v84
	s_waitcnt vmcnt(7)
	v_mul_u32_u24_e32 v148, 0x10001, v167
	s_waitcnt vmcnt(6)
	v_pk_lshrrev_b16 v149, 8, v168 op_sel:[1,0] op_sel_hi:[0,0]
	v_lshrrev_b32_e32 v150, 16, v149
	v_cvt_f16_i16_sdwa v149, sext(v149) dst_sel:DWORD dst_unused:UNUSED_PAD src0_sel:BYTE_0
	v_cvt_f16_i16_sdwa v150, sext(v150) dst_sel:DWORD dst_unused:UNUSED_PAD src0_sel:BYTE_0
	v_pack_b32_f16 v149, v149, v150
	v_pk_lshrrev_b16 v150, 8, v168 op_sel:[1,1] op_sel_hi:[0,1]
	v_lshrrev_b32_e32 v151, 16, v150
	v_cvt_f16_i16_sdwa v150, sext(v150) dst_sel:DWORD dst_unused:UNUSED_PAD src0_sel:BYTE_0
	v_cvt_f16_i16_sdwa v151, sext(v151) dst_sel:DWORD dst_unused:UNUSED_PAD src0_sel:BYTE_0
	v_pack_b32_f16 v150, v150, v151
	v_mul_u32_u24_sdwa v155, v31, s46 dst_sel:DWORD dst_unused:UNUSED_PAD src0_sel:WORD_0 src1_sel:DWORD
	v_pk_mul_f16 v149, v149, v148
	v_pk_mul_f16 v148, v150, v148
	v_pk_fma_f16 v154, v148, v155, v154
	s_waitcnt vmcnt(5)
	v_mul_u32_u24_e32 v156, 0x10001, v164
	v_addc_co_u32_e32 v164, vcc, v144, v85, vcc
	v_add_co_u32_e32 v148, vcc, v161, v145
	v_pk_fma_f16 v153, v149, v155, v153
	v_addc_co_u32_e32 v149, vcc, v164, v143, vcc
	v_add_co_u32_e32 v150, vcc, v148, v75
	s_waitcnt vmcnt(4)
	v_pk_lshrrev_b16 v157, 8, v165 op_sel:[1,0] op_sel_hi:[0,0]
	v_addc_co_u32_e32 v151, vcc, 0, v149, vcc
	global_load_ushort v166, v[148:149], off
	global_load_dword v167, v[150:151], off offset:2
	v_lshrrev_b32_e32 v158, 16, v157
	v_cvt_f16_i16_sdwa v148, sext(v157) dst_sel:DWORD dst_unused:UNUSED_PAD src0_sel:BYTE_0
	v_cvt_f16_i16_sdwa v149, sext(v158) dst_sel:DWORD dst_unused:UNUSED_PAD src0_sel:BYTE_0
	v_pack_b32_f16 v148, v148, v149
	v_pk_mul_f16 v157, v148, v156
	v_add_co_u32_e32 v148, vcc, v161, v147
	v_addc_co_u32_e32 v149, vcc, v164, v146, vcc
	v_add_co_u32_e32 v150, vcc, v148, v77
	v_addc_co_u32_e32 v151, vcc, 0, v149, vcc
	global_load_ushort v161, v[148:149], off
	s_nop 0
	global_load_dword v150, v[150:151], off offset:2
	v_pk_lshrrev_b16 v158, 8, v165 op_sel:[1,1] op_sel_hi:[0,1]
	v_lshrrev_b32_e32 v148, 16, v158
	v_cvt_f16_i16_sdwa v149, sext(v158) dst_sel:DWORD dst_unused:UNUSED_PAD src0_sel:BYTE_0
	v_cvt_f16_i16_sdwa v148, sext(v148) dst_sel:DWORD dst_unused:UNUSED_PAD src0_sel:BYTE_0
	v_pack_b32_f16 v148, v149, v148
	v_pk_mul_f16 v148, v148, v156
	v_pk_fma_f16 v151, v157, v155, v152
	v_pk_fma_f16 v152, v148, v155, v30
	v_mul_u32_u24_sdwa v155, v31, s46 dst_sel:DWORD dst_unused:UNUSED_PAD src0_sel:WORD_1 src1_sel:DWORD
	s_waitcnt vmcnt(7)
	v_mul_u32_u24_e32 v30, 0x10001, v162
	s_waitcnt vmcnt(6)
	v_pk_lshrrev_b16 v31, 8, v163 op_sel:[1,0] op_sel_hi:[0,0]
	v_lshrrev_b32_e32 v148, 16, v31
	v_cvt_f16_i16_sdwa v31, sext(v31) dst_sel:DWORD dst_unused:UNUSED_PAD src0_sel:BYTE_0
	v_cvt_f16_i16_sdwa v148, sext(v148) dst_sel:DWORD dst_unused:UNUSED_PAD src0_sel:BYTE_0
	v_pack_b32_f16 v31, v31, v148
	v_pk_lshrrev_b16 v148, 8, v163 op_sel:[1,1] op_sel_hi:[0,1]
	v_lshrrev_b32_e32 v149, 16, v148
	v_cvt_f16_i16_sdwa v148, sext(v148) dst_sel:DWORD dst_unused:UNUSED_PAD src0_sel:BYTE_0
	v_cvt_f16_i16_sdwa v149, sext(v149) dst_sel:DWORD dst_unused:UNUSED_PAD src0_sel:BYTE_0
	v_pack_b32_f16 v148, v148, v149
	v_pk_mul_f16 v31, v31, v30
	v_pk_mul_f16 v30, v148, v30
	v_pk_fma_f16 v154, v30, v155, v154
	s_waitcnt vmcnt(5)
	v_mul_u32_u24_e32 v156, 0x10001, v159
	v_add_co_u32_e32 v159, vcc, s23, v86
	v_addc_co_u32_e32 v162, vcc, v144, v87, vcc
	v_add_co_u32_e32 v30, vcc, v159, v145
	v_pk_fma_f16 v153, v31, v155, v153
	v_addc_co_u32_e32 v31, vcc, v162, v143, vcc
	v_add_co_u32_e32 v148, vcc, v30, v75
	v_addc_co_u32_e32 v149, vcc, 0, v31, vcc
	global_load_ushort v163, v[30:31], off
	global_load_dword v164, v[148:149], off offset:2
	s_waitcnt vmcnt(6)
	v_pk_lshrrev_b16 v157, 8, v160 op_sel:[1,0] op_sel_hi:[0,0]
	v_lshrrev_b32_e32 v158, 16, v157
	v_cvt_f16_i16_sdwa v30, sext(v157) dst_sel:DWORD dst_unused:UNUSED_PAD src0_sel:BYTE_0
	v_cvt_f16_i16_sdwa v31, sext(v158) dst_sel:DWORD dst_unused:UNUSED_PAD src0_sel:BYTE_0
	v_pack_b32_f16 v30, v30, v31
	v_pk_mul_f16 v157, v30, v156
	v_add_co_u32_e32 v30, vcc, v159, v147
	v_addc_co_u32_e32 v31, vcc, v162, v146, vcc
	v_pk_lshrrev_b16 v158, 8, v160 op_sel:[1,1] op_sel_hi:[0,1]
	v_add_co_u32_e32 v148, vcc, v30, v77
	v_addc_co_u32_e32 v149, vcc, 0, v31, vcc
	global_load_ushort v159, v[30:31], off
	global_load_dword v160, v[148:149], off offset:2
	v_lshrrev_b32_e32 v30, 16, v158
	v_cvt_f16_i16_sdwa v31, sext(v158) dst_sel:DWORD dst_unused:UNUSED_PAD src0_sel:BYTE_0
	v_cvt_f16_i16_sdwa v30, sext(v30) dst_sel:DWORD dst_unused:UNUSED_PAD src0_sel:BYTE_0
	v_pack_b32_f16 v30, v31, v30
	v_pk_mul_f16 v30, v30, v156
	v_pk_fma_f16 v152, v30, v155, v152
	v_pk_fma_f16 v151, v157, v155, v151
	v_mul_u32_u24_sdwa v155, v32, s46 dst_sel:DWORD dst_unused:UNUSED_PAD src0_sel:WORD_0 src1_sel:DWORD
	s_waitcnt vmcnt(7)
	v_mul_u32_u24_e32 v30, 0x10001, v166
	s_waitcnt vmcnt(6)
	v_pk_lshrrev_b16 v31, 8, v167 op_sel:[1,0] op_sel_hi:[0,0]
	v_lshrrev_b32_e32 v148, 16, v31
	v_cvt_f16_i16_sdwa v31, sext(v31) dst_sel:DWORD dst_unused:UNUSED_PAD src0_sel:BYTE_0
	v_cvt_f16_i16_sdwa v148, sext(v148) dst_sel:DWORD dst_unused:UNUSED_PAD src0_sel:BYTE_0
	v_pack_b32_f16 v31, v31, v148
	v_pk_lshrrev_b16 v148, 8, v167 op_sel:[1,1] op_sel_hi:[0,1]
	v_lshrrev_b32_e32 v149, 16, v148
	v_cvt_f16_i16_sdwa v148, sext(v148) dst_sel:DWORD dst_unused:UNUSED_PAD src0_sel:BYTE_0
	v_cvt_f16_i16_sdwa v149, sext(v149) dst_sel:DWORD dst_unused:UNUSED_PAD src0_sel:BYTE_0
	v_pack_b32_f16 v148, v148, v149
	v_pk_mul_f16 v31, v31, v30
	v_pk_mul_f16 v30, v148, v30
	v_pk_fma_f16 v154, v30, v155, v154
	s_waitcnt vmcnt(5)
	v_mul_u32_u24_e32 v156, 0x10001, v161
	v_add_co_u32_e32 v161, vcc, s23, v88
	v_addc_co_u32_e32 v162, vcc, v144, v89, vcc
	v_add_co_u32_e32 v30, vcc, v161, v145
	v_pk_fma_f16 v153, v31, v155, v153
	v_addc_co_u32_e32 v31, vcc, v162, v143, vcc
	v_add_co_u32_e32 v148, vcc, v30, v75
	s_waitcnt vmcnt(4)
	v_pk_lshrrev_b16 v157, 8, v150 op_sel:[1,0] op_sel_hi:[0,0]
	v_addc_co_u32_e32 v149, vcc, 0, v31, vcc
	global_load_ushort v165, v[30:31], off
	global_load_dword v166, v[148:149], off offset:2
	v_lshrrev_b32_e32 v158, 16, v157
	v_cvt_f16_i16_sdwa v30, sext(v157) dst_sel:DWORD dst_unused:UNUSED_PAD src0_sel:BYTE_0
	v_cvt_f16_i16_sdwa v31, sext(v158) dst_sel:DWORD dst_unused:UNUSED_PAD src0_sel:BYTE_0
	v_pack_b32_f16 v30, v30, v31
	v_pk_mul_f16 v157, v30, v156
	v_add_co_u32_e32 v30, vcc, v161, v147
	v_addc_co_u32_e32 v31, vcc, v162, v146, vcc
	v_add_co_u32_e32 v148, vcc, v30, v77
	v_addc_co_u32_e32 v149, vcc, 0, v31, vcc
	global_load_ushort v158, v[30:31], off
	global_load_dword v161, v[148:149], off offset:2
	v_pk_lshrrev_b16 v150, 8, v150 op_sel:[1,1] op_sel_hi:[0,1]
	v_lshrrev_b32_e32 v30, 16, v150
	v_cvt_f16_i16_sdwa v31, sext(v150) dst_sel:DWORD dst_unused:UNUSED_PAD src0_sel:BYTE_0
	v_cvt_f16_i16_sdwa v30, sext(v30) dst_sel:DWORD dst_unused:UNUSED_PAD src0_sel:BYTE_0
	v_pack_b32_f16 v30, v31, v30
	v_pk_mul_f16 v30, v30, v156
	v_pk_fma_f16 v150, v157, v155, v151
	v_pk_fma_f16 v151, v30, v155, v152
	v_mul_u32_u24_sdwa v32, v32, s46 dst_sel:DWORD dst_unused:UNUSED_PAD src0_sel:WORD_1 src1_sel:DWORD
	v_add_co_u32_e32 v157, vcc, s23, v90
	s_waitcnt vmcnt(6)
	v_pk_lshrrev_b16 v31, 8, v164 op_sel:[1,0] op_sel_hi:[0,0]
	v_lshrrev_b32_e32 v148, 16, v31
	v_cvt_f16_i16_sdwa v31, sext(v31) dst_sel:DWORD dst_unused:UNUSED_PAD src0_sel:BYTE_0
	v_cvt_f16_i16_sdwa v148, sext(v148) dst_sel:DWORD dst_unused:UNUSED_PAD src0_sel:BYTE_0
	v_pack_b32_f16 v31, v31, v148
	v_pk_lshrrev_b16 v148, 8, v164 op_sel:[1,1] op_sel_hi:[0,1]
	v_lshrrev_b32_e32 v149, 16, v148
	v_cvt_f16_i16_sdwa v148, sext(v148) dst_sel:DWORD dst_unused:UNUSED_PAD src0_sel:BYTE_0
	v_cvt_f16_i16_sdwa v149, sext(v149) dst_sel:DWORD dst_unused:UNUSED_PAD src0_sel:BYTE_0
	v_mul_u32_u24_e32 v30, 0x10001, v163
	v_pack_b32_f16 v148, v148, v149
	v_pk_mul_f16 v31, v31, v30
	v_pk_mul_f16 v30, v148, v30
	v_pk_fma_f16 v152, v31, v32, v153
	v_pk_fma_f16 v153, v30, v32, v154
	s_waitcnt vmcnt(5)
	v_mul_u32_u24_e32 v154, 0x10001, v159
	v_addc_co_u32_e32 v159, vcc, v144, v91, vcc
	v_add_co_u32_e32 v30, vcc, v157, v145
	v_addc_co_u32_e32 v31, vcc, v159, v143, vcc
	v_add_co_u32_e32 v148, vcc, v30, v75
	s_waitcnt vmcnt(4)
	v_pk_lshrrev_b16 v155, 8, v160 op_sel:[1,0] op_sel_hi:[0,0]
	v_addc_co_u32_e32 v149, vcc, 0, v31, vcc
	global_load_ushort v162, v[30:31], off
	global_load_dword v163, v[148:149], off offset:2
	v_lshrrev_b32_e32 v156, 16, v155
	v_cvt_f16_i16_sdwa v30, sext(v155) dst_sel:DWORD dst_unused:UNUSED_PAD src0_sel:BYTE_0
	v_cvt_f16_i16_sdwa v31, sext(v156) dst_sel:DWORD dst_unused:UNUSED_PAD src0_sel:BYTE_0
	v_pack_b32_f16 v30, v30, v31
	v_pk_mul_f16 v155, v30, v154
	v_add_co_u32_e32 v30, vcc, v157, v147
	v_addc_co_u32_e32 v31, vcc, v159, v146, vcc
	v_add_co_u32_e32 v148, vcc, v30, v77
	v_pk_lshrrev_b16 v156, 8, v160 op_sel:[1,1] op_sel_hi:[0,1]
	v_addc_co_u32_e32 v149, vcc, 0, v31, vcc
	global_load_ushort v157, v[30:31], off
	global_load_dword v159, v[148:149], off offset:2
	v_lshrrev_b32_e32 v30, 16, v156
	v_cvt_f16_i16_sdwa v31, sext(v156) dst_sel:DWORD dst_unused:UNUSED_PAD src0_sel:BYTE_0
	v_cvt_f16_i16_sdwa v30, sext(v30) dst_sel:DWORD dst_unused:UNUSED_PAD src0_sel:BYTE_0
	v_pack_b32_f16 v30, v31, v30
	v_pk_mul_f16 v30, v30, v154
	v_pk_fma_f16 v150, v155, v32, v150
	v_pk_fma_f16 v32, v30, v32, v151
	v_mul_u32_u24_sdwa v151, v33, s46 dst_sel:DWORD dst_unused:UNUSED_PAD src0_sel:WORD_0 src1_sel:DWORD
	s_waitcnt vmcnt(7)
	v_mul_u32_u24_e32 v30, 0x10001, v165
	s_waitcnt vmcnt(6)
	v_pk_lshrrev_b16 v31, 8, v166 op_sel:[1,0] op_sel_hi:[0,0]
	v_lshrrev_b32_e32 v148, 16, v31
	v_cvt_f16_i16_sdwa v31, sext(v31) dst_sel:DWORD dst_unused:UNUSED_PAD src0_sel:BYTE_0
	v_cvt_f16_i16_sdwa v148, sext(v148) dst_sel:DWORD dst_unused:UNUSED_PAD src0_sel:BYTE_0
	v_pack_b32_f16 v31, v31, v148
	v_pk_lshrrev_b16 v148, 8, v166 op_sel:[1,1] op_sel_hi:[0,1]
	v_lshrrev_b32_e32 v149, 16, v148
	v_cvt_f16_i16_sdwa v148, sext(v148) dst_sel:DWORD dst_unused:UNUSED_PAD src0_sel:BYTE_0
	v_cvt_f16_i16_sdwa v149, sext(v149) dst_sel:DWORD dst_unused:UNUSED_PAD src0_sel:BYTE_0
	v_pack_b32_f16 v148, v148, v149
	v_pk_mul_f16 v31, v31, v30
	v_pk_mul_f16 v30, v148, v30
	v_pk_fma_f16 v153, v30, v151, v153
	s_waitcnt vmcnt(5)
	v_mul_u32_u24_e32 v154, 0x10001, v158
	v_add_co_u32_e32 v158, vcc, s23, v92
	v_addc_co_u32_e32 v160, vcc, v144, v93, vcc
	v_add_co_u32_e32 v30, vcc, v158, v145
	v_pk_fma_f16 v152, v31, v151, v152
	v_addc_co_u32_e32 v31, vcc, v160, v143, vcc
	v_add_co_u32_e32 v148, vcc, v30, v75
	s_waitcnt vmcnt(4)
	v_pk_lshrrev_b16 v155, 8, v161 op_sel:[1,0] op_sel_hi:[0,0]
	v_addc_co_u32_e32 v149, vcc, 0, v31, vcc
	global_load_ushort v164, v[30:31], off
	global_load_dword v165, v[148:149], off offset:2
	v_lshrrev_b32_e32 v156, 16, v155
	v_cvt_f16_i16_sdwa v30, sext(v155) dst_sel:DWORD dst_unused:UNUSED_PAD src0_sel:BYTE_0
	v_cvt_f16_i16_sdwa v31, sext(v156) dst_sel:DWORD dst_unused:UNUSED_PAD src0_sel:BYTE_0
	v_pack_b32_f16 v30, v30, v31
	v_pk_mul_f16 v155, v30, v154
	v_add_co_u32_e32 v30, vcc, v158, v147
	v_addc_co_u32_e32 v31, vcc, v160, v146, vcc
	v_add_co_u32_e32 v148, vcc, v30, v77
	v_addc_co_u32_e32 v149, vcc, 0, v31, vcc
	global_load_ushort v158, v[30:31], off
	s_nop 0
	global_load_dword v148, v[148:149], off offset:2
	v_pk_lshrrev_b16 v156, 8, v161 op_sel:[1,1] op_sel_hi:[0,1]
	v_lshrrev_b32_e32 v30, 16, v156
	v_cvt_f16_i16_sdwa v31, sext(v156) dst_sel:DWORD dst_unused:UNUSED_PAD src0_sel:BYTE_0
	v_cvt_f16_i16_sdwa v30, sext(v30) dst_sel:DWORD dst_unused:UNUSED_PAD src0_sel:BYTE_0
	v_pack_b32_f16 v30, v31, v30
	v_pk_mul_f16 v30, v30, v154
	v_pk_fma_f16 v149, v155, v151, v150
	v_pk_fma_f16 v150, v30, v151, v32
	v_mul_u32_u24_sdwa v151, v33, s46 dst_sel:DWORD dst_unused:UNUSED_PAD src0_sel:WORD_1 src1_sel:DWORD
	s_waitcnt vmcnt(7)
	v_mul_u32_u24_e32 v30, 0x10001, v162
	s_waitcnt vmcnt(6)
	v_pk_lshrrev_b16 v31, 8, v163 op_sel:[1,0] op_sel_hi:[0,0]
	v_lshrrev_b32_e32 v32, 16, v31
	v_cvt_f16_i16_sdwa v31, sext(v31) dst_sel:DWORD dst_unused:UNUSED_PAD src0_sel:BYTE_0
	v_cvt_f16_i16_sdwa v32, sext(v32) dst_sel:DWORD dst_unused:UNUSED_PAD src0_sel:BYTE_0
	v_pack_b32_f16 v31, v31, v32
	v_pk_lshrrev_b16 v32, 8, v163 op_sel:[1,1] op_sel_hi:[0,1]
	v_lshrrev_b32_e32 v33, 16, v32
	v_cvt_f16_i16_sdwa v32, sext(v32) dst_sel:DWORD dst_unused:UNUSED_PAD src0_sel:BYTE_0
	v_cvt_f16_i16_sdwa v33, sext(v33) dst_sel:DWORD dst_unused:UNUSED_PAD src0_sel:BYTE_0
	v_pack_b32_f16 v32, v32, v33
	v_pk_mul_f16 v31, v31, v30
	v_pk_mul_f16 v30, v32, v30
	v_pk_fma_f16 v153, v30, v151, v153
	v_pk_fma_f16 v152, v31, v151, v152
	s_waitcnt vmcnt(5)
	v_mul_u32_u24_e32 v154, 0x10001, v157
	v_add_co_u32_e32 v157, vcc, s23, v94
	v_addc_co_u32_e32 v160, vcc, v144, v95, vcc
	v_add_co_u32_e32 v30, vcc, v157, v145
	v_addc_co_u32_e32 v31, vcc, v160, v143, vcc
	;; [unrolled: 2-line block ×3, first 2 shown]
	global_load_ushort v161, v[30:31], off
	global_load_dword v162, v[32:33], off offset:2
	s_waitcnt vmcnt(6)
	v_pk_lshrrev_b16 v155, 8, v159 op_sel:[1,0] op_sel_hi:[0,0]
	v_lshrrev_b32_e32 v156, 16, v155
	v_cvt_f16_i16_sdwa v30, sext(v155) dst_sel:DWORD dst_unused:UNUSED_PAD src0_sel:BYTE_0
	v_cvt_f16_i16_sdwa v31, sext(v156) dst_sel:DWORD dst_unused:UNUSED_PAD src0_sel:BYTE_0
	v_pack_b32_f16 v30, v30, v31
	v_pk_mul_f16 v155, v30, v154
	v_add_co_u32_e32 v30, vcc, v157, v147
	v_addc_co_u32_e32 v31, vcc, v160, v146, vcc
	v_pk_lshrrev_b16 v156, 8, v159 op_sel:[1,1] op_sel_hi:[0,1]
	v_add_co_u32_e32 v32, vcc, v30, v77
	v_addc_co_u32_e32 v33, vcc, 0, v31, vcc
	global_load_ushort v157, v[30:31], off
	global_load_dword v159, v[32:33], off offset:2
	v_lshrrev_b32_e32 v30, 16, v156
	v_cvt_f16_i16_sdwa v31, sext(v156) dst_sel:DWORD dst_unused:UNUSED_PAD src0_sel:BYTE_0
	v_cvt_f16_i16_sdwa v30, sext(v30) dst_sel:DWORD dst_unused:UNUSED_PAD src0_sel:BYTE_0
	v_pack_b32_f16 v30, v31, v30
	v_pk_mul_f16 v30, v30, v154
	v_pk_fma_f16 v150, v30, v151, v150
	v_pk_fma_f16 v149, v155, v151, v149
	s_waitcnt lgkmcnt(2)
	v_mul_u32_u24_sdwa v151, v26, s46 dst_sel:DWORD dst_unused:UNUSED_PAD src0_sel:WORD_0 src1_sel:DWORD
	v_mul_u32_u24_sdwa v26, v26, s46 dst_sel:DWORD dst_unused:UNUSED_PAD src0_sel:WORD_1 src1_sel:DWORD
	s_waitcnt vmcnt(7)
	v_mul_u32_u24_e32 v30, 0x10001, v164
	s_waitcnt vmcnt(6)
	v_pk_lshrrev_b16 v31, 8, v165 op_sel:[1,0] op_sel_hi:[0,0]
	v_lshrrev_b32_e32 v32, 16, v31
	v_cvt_f16_i16_sdwa v31, sext(v31) dst_sel:DWORD dst_unused:UNUSED_PAD src0_sel:BYTE_0
	v_cvt_f16_i16_sdwa v32, sext(v32) dst_sel:DWORD dst_unused:UNUSED_PAD src0_sel:BYTE_0
	v_pack_b32_f16 v31, v31, v32
	v_pk_lshrrev_b16 v32, 8, v165 op_sel:[1,1] op_sel_hi:[0,1]
	v_lshrrev_b32_e32 v33, 16, v32
	v_cvt_f16_i16_sdwa v32, sext(v32) dst_sel:DWORD dst_unused:UNUSED_PAD src0_sel:BYTE_0
	v_cvt_f16_i16_sdwa v33, sext(v33) dst_sel:DWORD dst_unused:UNUSED_PAD src0_sel:BYTE_0
	v_pack_b32_f16 v32, v32, v33
	v_pk_mul_f16 v31, v31, v30
	v_pk_mul_f16 v30, v32, v30
	v_pk_fma_f16 v153, v30, v151, v153
	s_waitcnt vmcnt(5)
	v_mul_u32_u24_e32 v154, 0x10001, v158
	v_add_co_u32_e32 v158, vcc, s23, v96
	v_addc_co_u32_e32 v160, vcc, v144, v97, vcc
	v_add_co_u32_e32 v30, vcc, v158, v145
	v_pk_fma_f16 v152, v31, v151, v152
	v_addc_co_u32_e32 v31, vcc, v160, v143, vcc
	v_add_co_u32_e32 v32, vcc, v30, v75
	s_waitcnt vmcnt(4)
	v_pk_lshrrev_b16 v155, 8, v148 op_sel:[1,0] op_sel_hi:[0,0]
	v_addc_co_u32_e32 v33, vcc, 0, v31, vcc
	global_load_ushort v163, v[30:31], off
	global_load_dword v164, v[32:33], off offset:2
	v_lshrrev_b32_e32 v156, 16, v155
	v_cvt_f16_i16_sdwa v30, sext(v155) dst_sel:DWORD dst_unused:UNUSED_PAD src0_sel:BYTE_0
	v_cvt_f16_i16_sdwa v31, sext(v156) dst_sel:DWORD dst_unused:UNUSED_PAD src0_sel:BYTE_0
	v_pack_b32_f16 v30, v30, v31
	v_pk_mul_f16 v155, v30, v154
	v_add_co_u32_e32 v30, vcc, v158, v147
	v_addc_co_u32_e32 v31, vcc, v160, v146, vcc
	v_add_co_u32_e32 v32, vcc, v30, v77
	v_addc_co_u32_e32 v33, vcc, 0, v31, vcc
	global_load_ushort v156, v[30:31], off
	global_load_dword v158, v[32:33], off offset:2
	v_pk_lshrrev_b16 v148, 8, v148 op_sel:[1,1] op_sel_hi:[0,1]
	v_lshrrev_b32_e32 v30, 16, v148
	v_cvt_f16_i16_sdwa v31, sext(v148) dst_sel:DWORD dst_unused:UNUSED_PAD src0_sel:BYTE_0
	v_cvt_f16_i16_sdwa v30, sext(v30) dst_sel:DWORD dst_unused:UNUSED_PAD src0_sel:BYTE_0
	v_pack_b32_f16 v30, v31, v30
	v_pk_mul_f16 v30, v30, v154
	v_pk_fma_f16 v148, v155, v151, v149
	v_pk_fma_f16 v149, v30, v151, v150
	s_waitcnt vmcnt(7)
	v_mul_u32_u24_e32 v30, 0x10001, v161
	s_waitcnt vmcnt(6)
	v_pk_lshrrev_b16 v31, 8, v162 op_sel:[1,0] op_sel_hi:[0,0]
	v_lshrrev_b32_e32 v32, 16, v31
	v_cvt_f16_i16_sdwa v31, sext(v31) dst_sel:DWORD dst_unused:UNUSED_PAD src0_sel:BYTE_0
	v_cvt_f16_i16_sdwa v32, sext(v32) dst_sel:DWORD dst_unused:UNUSED_PAD src0_sel:BYTE_0
	v_pack_b32_f16 v31, v31, v32
	v_pk_lshrrev_b16 v32, 8, v162 op_sel:[1,1] op_sel_hi:[0,1]
	v_lshrrev_b32_e32 v33, 16, v32
	v_cvt_f16_i16_sdwa v32, sext(v32) dst_sel:DWORD dst_unused:UNUSED_PAD src0_sel:BYTE_0
	v_cvt_f16_i16_sdwa v33, sext(v33) dst_sel:DWORD dst_unused:UNUSED_PAD src0_sel:BYTE_0
	v_pk_mul_f16 v31, v31, v30
	v_pack_b32_f16 v32, v32, v33
	v_add_co_u32_e32 v155, vcc, s23, v98
	v_pk_mul_f16 v30, v32, v30
	v_pk_fma_f16 v150, v31, v26, v152
	s_waitcnt vmcnt(5)
	v_mul_u32_u24_e32 v152, 0x10001, v157
	v_addc_co_u32_e32 v157, vcc, v144, v99, vcc
	v_pk_fma_f16 v151, v30, v26, v153
	v_add_co_u32_e32 v30, vcc, v155, v145
	v_addc_co_u32_e32 v31, vcc, v157, v143, vcc
	v_add_co_u32_e32 v32, vcc, v30, v75
	s_waitcnt vmcnt(4)
	v_pk_lshrrev_b16 v153, 8, v159 op_sel:[1,0] op_sel_hi:[0,0]
	v_addc_co_u32_e32 v33, vcc, 0, v31, vcc
	global_load_ushort v160, v[30:31], off
	global_load_dword v161, v[32:33], off offset:2
	v_lshrrev_b32_e32 v154, 16, v153
	v_cvt_f16_i16_sdwa v30, sext(v153) dst_sel:DWORD dst_unused:UNUSED_PAD src0_sel:BYTE_0
	v_cvt_f16_i16_sdwa v31, sext(v154) dst_sel:DWORD dst_unused:UNUSED_PAD src0_sel:BYTE_0
	v_pack_b32_f16 v30, v30, v31
	v_pk_mul_f16 v153, v30, v152
	v_add_co_u32_e32 v30, vcc, v155, v147
	v_addc_co_u32_e32 v31, vcc, v157, v146, vcc
	v_add_co_u32_e32 v32, vcc, v30, v77
	v_pk_lshrrev_b16 v154, 8, v159 op_sel:[1,1] op_sel_hi:[0,1]
	v_addc_co_u32_e32 v33, vcc, 0, v31, vcc
	global_load_ushort v155, v[30:31], off
	global_load_dword v157, v[32:33], off offset:2
	v_lshrrev_b32_e32 v30, 16, v154
	v_cvt_f16_i16_sdwa v31, sext(v154) dst_sel:DWORD dst_unused:UNUSED_PAD src0_sel:BYTE_0
	v_cvt_f16_i16_sdwa v30, sext(v30) dst_sel:DWORD dst_unused:UNUSED_PAD src0_sel:BYTE_0
	v_pack_b32_f16 v30, v31, v30
	v_pk_mul_f16 v30, v30, v152
	v_pk_fma_f16 v148, v153, v26, v148
	v_pk_fma_f16 v26, v30, v26, v149
	v_mul_u32_u24_sdwa v149, v27, s46 dst_sel:DWORD dst_unused:UNUSED_PAD src0_sel:WORD_0 src1_sel:DWORD
	s_waitcnt vmcnt(7)
	v_mul_u32_u24_e32 v30, 0x10001, v163
	s_waitcnt vmcnt(6)
	v_pk_lshrrev_b16 v31, 8, v164 op_sel:[1,0] op_sel_hi:[0,0]
	v_lshrrev_b32_e32 v32, 16, v31
	v_cvt_f16_i16_sdwa v31, sext(v31) dst_sel:DWORD dst_unused:UNUSED_PAD src0_sel:BYTE_0
	v_cvt_f16_i16_sdwa v32, sext(v32) dst_sel:DWORD dst_unused:UNUSED_PAD src0_sel:BYTE_0
	v_pack_b32_f16 v31, v31, v32
	v_pk_lshrrev_b16 v32, 8, v164 op_sel:[1,1] op_sel_hi:[0,1]
	v_lshrrev_b32_e32 v33, 16, v32
	v_cvt_f16_i16_sdwa v32, sext(v32) dst_sel:DWORD dst_unused:UNUSED_PAD src0_sel:BYTE_0
	v_cvt_f16_i16_sdwa v33, sext(v33) dst_sel:DWORD dst_unused:UNUSED_PAD src0_sel:BYTE_0
	v_pack_b32_f16 v32, v32, v33
	v_pk_mul_f16 v31, v31, v30
	v_pk_mul_f16 v30, v32, v30
	v_pk_fma_f16 v151, v30, v149, v151
	s_waitcnt vmcnt(5)
	v_mul_u32_u24_e32 v152, 0x10001, v156
	v_add_co_u32_e32 v156, vcc, s23, v100
	v_addc_co_u32_e32 v159, vcc, v144, v101, vcc
	v_add_co_u32_e32 v30, vcc, v156, v145
	v_pk_fma_f16 v150, v31, v149, v150
	v_addc_co_u32_e32 v31, vcc, v159, v143, vcc
	v_add_co_u32_e32 v32, vcc, v30, v75
	s_waitcnt vmcnt(4)
	v_pk_lshrrev_b16 v153, 8, v158 op_sel:[1,0] op_sel_hi:[0,0]
	v_addc_co_u32_e32 v33, vcc, 0, v31, vcc
	global_load_ushort v162, v[30:31], off
	global_load_dword v163, v[32:33], off offset:2
	v_lshrrev_b32_e32 v154, 16, v153
	v_cvt_f16_i16_sdwa v30, sext(v153) dst_sel:DWORD dst_unused:UNUSED_PAD src0_sel:BYTE_0
	v_cvt_f16_i16_sdwa v31, sext(v154) dst_sel:DWORD dst_unused:UNUSED_PAD src0_sel:BYTE_0
	v_pack_b32_f16 v30, v30, v31
	v_pk_mul_f16 v153, v30, v152
	v_add_co_u32_e32 v30, vcc, v156, v147
	v_addc_co_u32_e32 v31, vcc, v159, v146, vcc
	v_add_co_u32_e32 v32, vcc, v30, v77
	v_addc_co_u32_e32 v33, vcc, 0, v31, vcc
	global_load_ushort v156, v[30:31], off
	s_nop 0
	global_load_dword v32, v[32:33], off offset:2
	v_pk_lshrrev_b16 v154, 8, v158 op_sel:[1,1] op_sel_hi:[0,1]
	v_lshrrev_b32_e32 v30, 16, v154
	v_cvt_f16_i16_sdwa v31, sext(v154) dst_sel:DWORD dst_unused:UNUSED_PAD src0_sel:BYTE_0
	v_cvt_f16_i16_sdwa v30, sext(v30) dst_sel:DWORD dst_unused:UNUSED_PAD src0_sel:BYTE_0
	v_pack_b32_f16 v30, v31, v30
	v_pk_mul_f16 v30, v30, v152
	v_pk_fma_f16 v33, v153, v149, v148
	v_pk_fma_f16 v148, v30, v149, v26
	v_mul_u32_u24_sdwa v149, v27, s46 dst_sel:DWORD dst_unused:UNUSED_PAD src0_sel:WORD_1 src1_sel:DWORD
	s_waitcnt vmcnt(6)
	v_pk_lshrrev_b16 v27, 8, v161 op_sel:[1,0] op_sel_hi:[0,0]
	v_lshrrev_b32_e32 v30, 16, v27
	v_cvt_f16_i16_sdwa v27, sext(v27) dst_sel:DWORD dst_unused:UNUSED_PAD src0_sel:BYTE_0
	v_cvt_f16_i16_sdwa v30, sext(v30) dst_sel:DWORD dst_unused:UNUSED_PAD src0_sel:BYTE_0
	v_pack_b32_f16 v27, v27, v30
	v_pk_lshrrev_b16 v30, 8, v161 op_sel:[1,1] op_sel_hi:[0,1]
	v_lshrrev_b32_e32 v31, 16, v30
	v_cvt_f16_i16_sdwa v30, sext(v30) dst_sel:DWORD dst_unused:UNUSED_PAD src0_sel:BYTE_0
	v_cvt_f16_i16_sdwa v31, sext(v31) dst_sel:DWORD dst_unused:UNUSED_PAD src0_sel:BYTE_0
	v_mul_u32_u24_e32 v26, 0x10001, v160
	v_pack_b32_f16 v30, v30, v31
	v_pk_mul_f16 v27, v27, v26
	v_pk_mul_f16 v26, v30, v26
	v_pk_fma_f16 v151, v26, v149, v151
	s_waitcnt vmcnt(5)
	v_mul_u32_u24_e32 v152, 0x10001, v155
	v_add_co_u32_e32 v155, vcc, s23, v102
	v_addc_co_u32_e32 v158, vcc, v144, v103, vcc
	v_add_co_u32_e32 v26, vcc, v155, v145
	v_pk_fma_f16 v150, v27, v149, v150
	v_addc_co_u32_e32 v27, vcc, v158, v143, vcc
	v_add_co_u32_e32 v30, vcc, v26, v75
	v_addc_co_u32_e32 v31, vcc, 0, v27, vcc
	global_load_ushort v159, v[26:27], off
	global_load_dword v160, v[30:31], off offset:2
	s_waitcnt vmcnt(6)
	v_pk_lshrrev_b16 v153, 8, v157 op_sel:[1,0] op_sel_hi:[0,0]
	v_lshrrev_b32_e32 v154, 16, v153
	v_cvt_f16_i16_sdwa v26, sext(v153) dst_sel:DWORD dst_unused:UNUSED_PAD src0_sel:BYTE_0
	v_cvt_f16_i16_sdwa v27, sext(v154) dst_sel:DWORD dst_unused:UNUSED_PAD src0_sel:BYTE_0
	v_pack_b32_f16 v26, v26, v27
	v_pk_mul_f16 v153, v26, v152
	v_add_co_u32_e32 v26, vcc, v155, v147
	v_addc_co_u32_e32 v27, vcc, v158, v146, vcc
	v_pk_lshrrev_b16 v154, 8, v157 op_sel:[1,1] op_sel_hi:[0,1]
	v_add_co_u32_e32 v30, vcc, v26, v77
	v_addc_co_u32_e32 v31, vcc, 0, v27, vcc
	global_load_ushort v155, v[26:27], off
	global_load_dword v157, v[30:31], off offset:2
	v_lshrrev_b32_e32 v26, 16, v154
	v_cvt_f16_i16_sdwa v27, sext(v154) dst_sel:DWORD dst_unused:UNUSED_PAD src0_sel:BYTE_0
	v_cvt_f16_i16_sdwa v26, sext(v26) dst_sel:DWORD dst_unused:UNUSED_PAD src0_sel:BYTE_0
	v_pack_b32_f16 v26, v27, v26
	v_pk_mul_f16 v26, v26, v152
	v_pk_fma_f16 v148, v26, v149, v148
	v_pk_fma_f16 v33, v153, v149, v33
	v_mul_u32_u24_sdwa v149, v28, s46 dst_sel:DWORD dst_unused:UNUSED_PAD src0_sel:WORD_0 src1_sel:DWORD
	v_mul_u32_u24_sdwa v28, v28, s46 dst_sel:DWORD dst_unused:UNUSED_PAD src0_sel:WORD_1 src1_sel:DWORD
	s_waitcnt vmcnt(7)
	v_mul_u32_u24_e32 v26, 0x10001, v162
	s_waitcnt vmcnt(6)
	v_pk_lshrrev_b16 v27, 8, v163 op_sel:[1,0] op_sel_hi:[0,0]
	v_lshrrev_b32_e32 v30, 16, v27
	v_cvt_f16_i16_sdwa v27, sext(v27) dst_sel:DWORD dst_unused:UNUSED_PAD src0_sel:BYTE_0
	v_cvt_f16_i16_sdwa v30, sext(v30) dst_sel:DWORD dst_unused:UNUSED_PAD src0_sel:BYTE_0
	v_pack_b32_f16 v27, v27, v30
	v_pk_lshrrev_b16 v30, 8, v163 op_sel:[1,1] op_sel_hi:[0,1]
	v_lshrrev_b32_e32 v31, 16, v30
	v_cvt_f16_i16_sdwa v30, sext(v30) dst_sel:DWORD dst_unused:UNUSED_PAD src0_sel:BYTE_0
	v_cvt_f16_i16_sdwa v31, sext(v31) dst_sel:DWORD dst_unused:UNUSED_PAD src0_sel:BYTE_0
	v_pack_b32_f16 v30, v30, v31
	v_pk_mul_f16 v27, v27, v26
	v_pk_mul_f16 v26, v30, v26
	v_pk_fma_f16 v151, v26, v149, v151
	s_waitcnt vmcnt(5)
	v_mul_u32_u24_e32 v152, 0x10001, v156
	v_add_co_u32_e32 v156, vcc, s23, v104
	v_addc_co_u32_e32 v158, vcc, v144, v105, vcc
	v_add_co_u32_e32 v26, vcc, v156, v145
	v_pk_fma_f16 v150, v27, v149, v150
	v_addc_co_u32_e32 v27, vcc, v158, v143, vcc
	v_add_co_u32_e32 v30, vcc, v26, v75
	s_waitcnt vmcnt(4)
	v_pk_lshrrev_b16 v153, 8, v32 op_sel:[1,0] op_sel_hi:[0,0]
	v_addc_co_u32_e32 v31, vcc, 0, v27, vcc
	global_load_ushort v161, v[26:27], off
	global_load_dword v162, v[30:31], off offset:2
	v_lshrrev_b32_e32 v154, 16, v153
	v_cvt_f16_i16_sdwa v26, sext(v153) dst_sel:DWORD dst_unused:UNUSED_PAD src0_sel:BYTE_0
	v_cvt_f16_i16_sdwa v27, sext(v154) dst_sel:DWORD dst_unused:UNUSED_PAD src0_sel:BYTE_0
	v_pack_b32_f16 v26, v26, v27
	v_pk_mul_f16 v153, v26, v152
	v_add_co_u32_e32 v26, vcc, v156, v147
	v_addc_co_u32_e32 v27, vcc, v158, v146, vcc
	v_add_co_u32_e32 v30, vcc, v26, v77
	v_addc_co_u32_e32 v31, vcc, 0, v27, vcc
	global_load_ushort v154, v[26:27], off
	global_load_dword v156, v[30:31], off offset:2
	v_pk_lshrrev_b16 v32, 8, v32 op_sel:[1,1] op_sel_hi:[0,1]
	v_lshrrev_b32_e32 v26, 16, v32
	v_cvt_f16_i16_sdwa v27, sext(v32) dst_sel:DWORD dst_unused:UNUSED_PAD src0_sel:BYTE_0
	v_cvt_f16_i16_sdwa v26, sext(v26) dst_sel:DWORD dst_unused:UNUSED_PAD src0_sel:BYTE_0
	v_pack_b32_f16 v26, v27, v26
	v_pk_mul_f16 v26, v26, v152
	v_pk_fma_f16 v32, v153, v149, v33
	v_pk_fma_f16 v33, v26, v149, v148
	s_waitcnt vmcnt(7)
	v_mul_u32_u24_e32 v26, 0x10001, v159
	s_waitcnt vmcnt(6)
	v_pk_lshrrev_b16 v27, 8, v160 op_sel:[1,0] op_sel_hi:[0,0]
	v_lshrrev_b32_e32 v30, 16, v27
	v_cvt_f16_i16_sdwa v27, sext(v27) dst_sel:DWORD dst_unused:UNUSED_PAD src0_sel:BYTE_0
	v_cvt_f16_i16_sdwa v30, sext(v30) dst_sel:DWORD dst_unused:UNUSED_PAD src0_sel:BYTE_0
	v_pack_b32_f16 v27, v27, v30
	v_pk_lshrrev_b16 v30, 8, v160 op_sel:[1,1] op_sel_hi:[0,1]
	v_lshrrev_b32_e32 v31, 16, v30
	v_cvt_f16_i16_sdwa v30, sext(v30) dst_sel:DWORD dst_unused:UNUSED_PAD src0_sel:BYTE_0
	v_cvt_f16_i16_sdwa v31, sext(v31) dst_sel:DWORD dst_unused:UNUSED_PAD src0_sel:BYTE_0
	v_pk_mul_f16 v27, v27, v26
	v_pack_b32_f16 v30, v30, v31
	v_add_co_u32_e32 v153, vcc, s23, v106
	v_pk_mul_f16 v26, v30, v26
	v_pk_fma_f16 v148, v27, v28, v150
	s_waitcnt vmcnt(5)
	v_mul_u32_u24_e32 v150, 0x10001, v155
	v_addc_co_u32_e32 v155, vcc, v144, v107, vcc
	v_pk_fma_f16 v149, v26, v28, v151
	v_add_co_u32_e32 v26, vcc, v153, v145
	v_addc_co_u32_e32 v27, vcc, v155, v143, vcc
	v_add_co_u32_e32 v30, vcc, v26, v75
	s_waitcnt vmcnt(4)
	v_pk_lshrrev_b16 v151, 8, v157 op_sel:[1,0] op_sel_hi:[0,0]
	v_addc_co_u32_e32 v31, vcc, 0, v27, vcc
	global_load_ushort v158, v[26:27], off
	global_load_dword v159, v[30:31], off offset:2
	v_lshrrev_b32_e32 v152, 16, v151
	v_cvt_f16_i16_sdwa v26, sext(v151) dst_sel:DWORD dst_unused:UNUSED_PAD src0_sel:BYTE_0
	v_cvt_f16_i16_sdwa v27, sext(v152) dst_sel:DWORD dst_unused:UNUSED_PAD src0_sel:BYTE_0
	v_pack_b32_f16 v26, v26, v27
	v_pk_mul_f16 v151, v26, v150
	v_add_co_u32_e32 v26, vcc, v153, v147
	v_addc_co_u32_e32 v27, vcc, v155, v146, vcc
	v_add_co_u32_e32 v30, vcc, v26, v77
	v_pk_lshrrev_b16 v152, 8, v157 op_sel:[1,1] op_sel_hi:[0,1]
	v_addc_co_u32_e32 v31, vcc, 0, v27, vcc
	global_load_ushort v153, v[26:27], off
	global_load_dword v155, v[30:31], off offset:2
	v_lshrrev_b32_e32 v26, 16, v152
	v_cvt_f16_i16_sdwa v27, sext(v152) dst_sel:DWORD dst_unused:UNUSED_PAD src0_sel:BYTE_0
	v_cvt_f16_i16_sdwa v26, sext(v26) dst_sel:DWORD dst_unused:UNUSED_PAD src0_sel:BYTE_0
	v_pack_b32_f16 v26, v27, v26
	v_pk_mul_f16 v26, v26, v150
	v_pk_fma_f16 v32, v151, v28, v32
	v_pk_fma_f16 v28, v26, v28, v33
	v_mul_u32_u24_sdwa v33, v29, s46 dst_sel:DWORD dst_unused:UNUSED_PAD src0_sel:WORD_0 src1_sel:DWORD
	s_waitcnt vmcnt(7)
	v_mul_u32_u24_e32 v26, 0x10001, v161
	s_waitcnt vmcnt(6)
	v_pk_lshrrev_b16 v27, 8, v162 op_sel:[1,0] op_sel_hi:[0,0]
	v_lshrrev_b32_e32 v30, 16, v27
	v_cvt_f16_i16_sdwa v27, sext(v27) dst_sel:DWORD dst_unused:UNUSED_PAD src0_sel:BYTE_0
	v_cvt_f16_i16_sdwa v30, sext(v30) dst_sel:DWORD dst_unused:UNUSED_PAD src0_sel:BYTE_0
	v_pack_b32_f16 v27, v27, v30
	v_pk_lshrrev_b16 v30, 8, v162 op_sel:[1,1] op_sel_hi:[0,1]
	v_lshrrev_b32_e32 v31, 16, v30
	v_cvt_f16_i16_sdwa v30, sext(v30) dst_sel:DWORD dst_unused:UNUSED_PAD src0_sel:BYTE_0
	v_cvt_f16_i16_sdwa v31, sext(v31) dst_sel:DWORD dst_unused:UNUSED_PAD src0_sel:BYTE_0
	v_pack_b32_f16 v30, v30, v31
	v_pk_mul_f16 v27, v27, v26
	v_pk_mul_f16 v26, v30, v26
	v_pk_fma_f16 v149, v26, v33, v149
	s_waitcnt vmcnt(5)
	v_mul_u32_u24_e32 v150, 0x10001, v154
	v_add_co_u32_e32 v154, vcc, s23, v108
	v_addc_co_u32_e32 v157, vcc, v144, v109, vcc
	v_add_co_u32_e32 v26, vcc, v154, v145
	v_pk_fma_f16 v148, v27, v33, v148
	v_addc_co_u32_e32 v27, vcc, v157, v143, vcc
	v_add_co_u32_e32 v30, vcc, v26, v75
	s_waitcnt vmcnt(4)
	v_pk_lshrrev_b16 v151, 8, v156 op_sel:[1,0] op_sel_hi:[0,0]
	v_addc_co_u32_e32 v31, vcc, 0, v27, vcc
	global_load_ushort v160, v[26:27], off
	global_load_dword v161, v[30:31], off offset:2
	v_lshrrev_b32_e32 v152, 16, v151
	v_cvt_f16_i16_sdwa v26, sext(v151) dst_sel:DWORD dst_unused:UNUSED_PAD src0_sel:BYTE_0
	v_cvt_f16_i16_sdwa v27, sext(v152) dst_sel:DWORD dst_unused:UNUSED_PAD src0_sel:BYTE_0
	v_pack_b32_f16 v26, v26, v27
	v_pk_mul_f16 v151, v26, v150
	v_add_co_u32_e32 v26, vcc, v154, v147
	v_addc_co_u32_e32 v27, vcc, v157, v146, vcc
	v_add_co_u32_e32 v30, vcc, v26, v77
	v_addc_co_u32_e32 v31, vcc, 0, v27, vcc
	global_load_ushort v154, v[26:27], off
	s_nop 0
	global_load_dword v30, v[30:31], off offset:2
	v_pk_lshrrev_b16 v152, 8, v156 op_sel:[1,1] op_sel_hi:[0,1]
	v_lshrrev_b32_e32 v26, 16, v152
	v_cvt_f16_i16_sdwa v27, sext(v152) dst_sel:DWORD dst_unused:UNUSED_PAD src0_sel:BYTE_0
	v_cvt_f16_i16_sdwa v26, sext(v26) dst_sel:DWORD dst_unused:UNUSED_PAD src0_sel:BYTE_0
	v_pack_b32_f16 v26, v27, v26
	v_pk_mul_f16 v26, v26, v150
	v_pk_fma_f16 v31, v151, v33, v32
	v_pk_fma_f16 v32, v26, v33, v28
	v_mul_u32_u24_sdwa v33, v29, s46 dst_sel:DWORD dst_unused:UNUSED_PAD src0_sel:WORD_1 src1_sel:DWORD
	s_waitcnt vmcnt(6)
	v_pk_lshrrev_b16 v27, 8, v159 op_sel:[1,0] op_sel_hi:[0,0]
	v_lshrrev_b32_e32 v28, 16, v27
	v_cvt_f16_i16_sdwa v27, sext(v27) dst_sel:DWORD dst_unused:UNUSED_PAD src0_sel:BYTE_0
	v_cvt_f16_i16_sdwa v28, sext(v28) dst_sel:DWORD dst_unused:UNUSED_PAD src0_sel:BYTE_0
	v_pack_b32_f16 v27, v27, v28
	v_pk_lshrrev_b16 v28, 8, v159 op_sel:[1,1] op_sel_hi:[0,1]
	v_lshrrev_b32_e32 v29, 16, v28
	v_cvt_f16_i16_sdwa v28, sext(v28) dst_sel:DWORD dst_unused:UNUSED_PAD src0_sel:BYTE_0
	v_cvt_f16_i16_sdwa v29, sext(v29) dst_sel:DWORD dst_unused:UNUSED_PAD src0_sel:BYTE_0
	v_mul_u32_u24_e32 v26, 0x10001, v158
	v_pack_b32_f16 v28, v28, v29
	v_pk_mul_f16 v27, v27, v26
	v_pk_mul_f16 v26, v28, v26
	v_pk_fma_f16 v149, v26, v33, v149
	s_waitcnt vmcnt(5)
	v_mul_u32_u24_e32 v150, 0x10001, v153
	v_add_co_u32_e32 v153, vcc, s23, v110
	v_addc_co_u32_e32 v156, vcc, v144, v111, vcc
	v_add_co_u32_e32 v26, vcc, v153, v145
	v_pk_fma_f16 v148, v27, v33, v148
	v_addc_co_u32_e32 v27, vcc, v156, v143, vcc
	v_add_co_u32_e32 v28, vcc, v26, v75
	v_addc_co_u32_e32 v29, vcc, 0, v27, vcc
	global_load_ushort v157, v[26:27], off
	global_load_dword v158, v[28:29], off offset:2
	s_waitcnt vmcnt(6)
	v_pk_lshrrev_b16 v151, 8, v155 op_sel:[1,0] op_sel_hi:[0,0]
	v_lshrrev_b32_e32 v152, 16, v151
	v_cvt_f16_i16_sdwa v26, sext(v151) dst_sel:DWORD dst_unused:UNUSED_PAD src0_sel:BYTE_0
	v_cvt_f16_i16_sdwa v27, sext(v152) dst_sel:DWORD dst_unused:UNUSED_PAD src0_sel:BYTE_0
	v_pack_b32_f16 v26, v26, v27
	v_pk_mul_f16 v151, v26, v150
	v_add_co_u32_e32 v26, vcc, v153, v147
	v_addc_co_u32_e32 v27, vcc, v156, v146, vcc
	v_pk_lshrrev_b16 v152, 8, v155 op_sel:[1,1] op_sel_hi:[0,1]
	v_add_co_u32_e32 v28, vcc, v26, v77
	v_addc_co_u32_e32 v29, vcc, 0, v27, vcc
	global_load_ushort v153, v[26:27], off
	global_load_dword v155, v[28:29], off offset:2
	v_lshrrev_b32_e32 v26, 16, v152
	v_cvt_f16_i16_sdwa v27, sext(v152) dst_sel:DWORD dst_unused:UNUSED_PAD src0_sel:BYTE_0
	v_cvt_f16_i16_sdwa v26, sext(v26) dst_sel:DWORD dst_unused:UNUSED_PAD src0_sel:BYTE_0
	v_pack_b32_f16 v26, v27, v26
	v_pk_mul_f16 v26, v26, v150
	v_pk_fma_f16 v32, v26, v33, v32
	v_pk_fma_f16 v31, v151, v33, v31
	s_waitcnt lgkmcnt(1)
	v_mul_u32_u24_sdwa v33, v22, s46 dst_sel:DWORD dst_unused:UNUSED_PAD src0_sel:WORD_0 src1_sel:DWORD
	v_mul_u32_u24_sdwa v22, v22, s46 dst_sel:DWORD dst_unused:UNUSED_PAD src0_sel:WORD_1 src1_sel:DWORD
	s_waitcnt vmcnt(7)
	v_mul_u32_u24_e32 v26, 0x10001, v160
	s_waitcnt vmcnt(6)
	v_pk_lshrrev_b16 v27, 8, v161 op_sel:[1,0] op_sel_hi:[0,0]
	v_lshrrev_b32_e32 v28, 16, v27
	v_cvt_f16_i16_sdwa v27, sext(v27) dst_sel:DWORD dst_unused:UNUSED_PAD src0_sel:BYTE_0
	v_cvt_f16_i16_sdwa v28, sext(v28) dst_sel:DWORD dst_unused:UNUSED_PAD src0_sel:BYTE_0
	v_pack_b32_f16 v27, v27, v28
	v_pk_lshrrev_b16 v28, 8, v161 op_sel:[1,1] op_sel_hi:[0,1]
	v_lshrrev_b32_e32 v29, 16, v28
	v_cvt_f16_i16_sdwa v28, sext(v28) dst_sel:DWORD dst_unused:UNUSED_PAD src0_sel:BYTE_0
	v_cvt_f16_i16_sdwa v29, sext(v29) dst_sel:DWORD dst_unused:UNUSED_PAD src0_sel:BYTE_0
	v_pack_b32_f16 v28, v28, v29
	v_pk_mul_f16 v27, v27, v26
	v_pk_mul_f16 v26, v28, v26
	v_pk_fma_f16 v149, v26, v33, v149
	s_waitcnt vmcnt(5)
	v_mul_u32_u24_e32 v150, 0x10001, v154
	v_add_co_u32_e32 v154, vcc, s23, v112
	v_addc_co_u32_e32 v156, vcc, v144, v113, vcc
	v_add_co_u32_e32 v26, vcc, v154, v145
	v_pk_fma_f16 v148, v27, v33, v148
	v_addc_co_u32_e32 v27, vcc, v156, v143, vcc
	v_add_co_u32_e32 v28, vcc, v26, v75
	s_waitcnt vmcnt(4)
	v_pk_lshrrev_b16 v151, 8, v30 op_sel:[1,0] op_sel_hi:[0,0]
	v_addc_co_u32_e32 v29, vcc, 0, v27, vcc
	global_load_ushort v159, v[26:27], off
	global_load_dword v160, v[28:29], off offset:2
	v_lshrrev_b32_e32 v152, 16, v151
	v_cvt_f16_i16_sdwa v26, sext(v151) dst_sel:DWORD dst_unused:UNUSED_PAD src0_sel:BYTE_0
	v_cvt_f16_i16_sdwa v27, sext(v152) dst_sel:DWORD dst_unused:UNUSED_PAD src0_sel:BYTE_0
	v_pack_b32_f16 v26, v26, v27
	v_pk_mul_f16 v151, v26, v150
	v_add_co_u32_e32 v26, vcc, v154, v147
	v_addc_co_u32_e32 v27, vcc, v156, v146, vcc
	v_add_co_u32_e32 v28, vcc, v26, v77
	v_addc_co_u32_e32 v29, vcc, 0, v27, vcc
	global_load_ushort v152, v[26:27], off
	global_load_dword v154, v[28:29], off offset:2
	v_pk_lshrrev_b16 v30, 8, v30 op_sel:[1,1] op_sel_hi:[0,1]
	v_lshrrev_b32_e32 v26, 16, v30
	v_cvt_f16_i16_sdwa v27, sext(v30) dst_sel:DWORD dst_unused:UNUSED_PAD src0_sel:BYTE_0
	v_cvt_f16_i16_sdwa v26, sext(v26) dst_sel:DWORD dst_unused:UNUSED_PAD src0_sel:BYTE_0
	v_pack_b32_f16 v26, v27, v26
	v_pk_mul_f16 v26, v26, v150
	v_pk_fma_f16 v30, v151, v33, v31
	v_pk_fma_f16 v31, v26, v33, v32
	s_waitcnt vmcnt(7)
	v_mul_u32_u24_e32 v26, 0x10001, v157
	s_waitcnt vmcnt(6)
	v_pk_lshrrev_b16 v27, 8, v158 op_sel:[1,0] op_sel_hi:[0,0]
	v_lshrrev_b32_e32 v28, 16, v27
	v_cvt_f16_i16_sdwa v27, sext(v27) dst_sel:DWORD dst_unused:UNUSED_PAD src0_sel:BYTE_0
	v_cvt_f16_i16_sdwa v28, sext(v28) dst_sel:DWORD dst_unused:UNUSED_PAD src0_sel:BYTE_0
	v_pack_b32_f16 v27, v27, v28
	v_pk_lshrrev_b16 v28, 8, v158 op_sel:[1,1] op_sel_hi:[0,1]
	v_lshrrev_b32_e32 v29, 16, v28
	v_cvt_f16_i16_sdwa v28, sext(v28) dst_sel:DWORD dst_unused:UNUSED_PAD src0_sel:BYTE_0
	v_cvt_f16_i16_sdwa v29, sext(v29) dst_sel:DWORD dst_unused:UNUSED_PAD src0_sel:BYTE_0
	v_pk_mul_f16 v27, v27, v26
	v_pack_b32_f16 v28, v28, v29
	v_add_co_u32_e32 v151, vcc, s23, v114
	v_pk_mul_f16 v26, v28, v26
	v_pk_fma_f16 v32, v27, v22, v148
	s_waitcnt vmcnt(5)
	v_mul_u32_u24_e32 v148, 0x10001, v153
	v_addc_co_u32_e32 v153, vcc, v144, v115, vcc
	v_pk_fma_f16 v33, v26, v22, v149
	v_add_co_u32_e32 v26, vcc, v151, v145
	v_addc_co_u32_e32 v27, vcc, v153, v143, vcc
	v_add_co_u32_e32 v28, vcc, v26, v75
	s_waitcnt vmcnt(4)
	v_pk_lshrrev_b16 v149, 8, v155 op_sel:[1,0] op_sel_hi:[0,0]
	v_addc_co_u32_e32 v29, vcc, 0, v27, vcc
	global_load_ushort v156, v[26:27], off
	global_load_dword v157, v[28:29], off offset:2
	v_lshrrev_b32_e32 v150, 16, v149
	v_cvt_f16_i16_sdwa v26, sext(v149) dst_sel:DWORD dst_unused:UNUSED_PAD src0_sel:BYTE_0
	v_cvt_f16_i16_sdwa v27, sext(v150) dst_sel:DWORD dst_unused:UNUSED_PAD src0_sel:BYTE_0
	v_pack_b32_f16 v26, v26, v27
	v_pk_mul_f16 v149, v26, v148
	v_add_co_u32_e32 v26, vcc, v151, v147
	v_addc_co_u32_e32 v27, vcc, v153, v146, vcc
	v_add_co_u32_e32 v28, vcc, v26, v77
	v_pk_lshrrev_b16 v150, 8, v155 op_sel:[1,1] op_sel_hi:[0,1]
	v_addc_co_u32_e32 v29, vcc, 0, v27, vcc
	global_load_ushort v151, v[26:27], off
	global_load_dword v153, v[28:29], off offset:2
	v_lshrrev_b32_e32 v26, 16, v150
	v_cvt_f16_i16_sdwa v27, sext(v150) dst_sel:DWORD dst_unused:UNUSED_PAD src0_sel:BYTE_0
	v_cvt_f16_i16_sdwa v26, sext(v26) dst_sel:DWORD dst_unused:UNUSED_PAD src0_sel:BYTE_0
	v_pack_b32_f16 v26, v27, v26
	v_pk_mul_f16 v26, v26, v148
	v_pk_fma_f16 v30, v149, v22, v30
	v_pk_fma_f16 v22, v26, v22, v31
	v_mul_u32_u24_sdwa v31, v23, s46 dst_sel:DWORD dst_unused:UNUSED_PAD src0_sel:WORD_0 src1_sel:DWORD
	s_waitcnt vmcnt(7)
	v_mul_u32_u24_e32 v26, 0x10001, v159
	s_waitcnt vmcnt(6)
	v_pk_lshrrev_b16 v27, 8, v160 op_sel:[1,0] op_sel_hi:[0,0]
	v_lshrrev_b32_e32 v28, 16, v27
	v_cvt_f16_i16_sdwa v27, sext(v27) dst_sel:DWORD dst_unused:UNUSED_PAD src0_sel:BYTE_0
	v_cvt_f16_i16_sdwa v28, sext(v28) dst_sel:DWORD dst_unused:UNUSED_PAD src0_sel:BYTE_0
	v_pack_b32_f16 v27, v27, v28
	v_pk_lshrrev_b16 v28, 8, v160 op_sel:[1,1] op_sel_hi:[0,1]
	v_lshrrev_b32_e32 v29, 16, v28
	v_cvt_f16_i16_sdwa v28, sext(v28) dst_sel:DWORD dst_unused:UNUSED_PAD src0_sel:BYTE_0
	v_cvt_f16_i16_sdwa v29, sext(v29) dst_sel:DWORD dst_unused:UNUSED_PAD src0_sel:BYTE_0
	v_pack_b32_f16 v28, v28, v29
	v_pk_mul_f16 v27, v27, v26
	v_pk_mul_f16 v26, v28, v26
	v_pk_fma_f16 v33, v26, v31, v33
	s_waitcnt vmcnt(5)
	v_mul_u32_u24_e32 v148, 0x10001, v152
	v_add_co_u32_e32 v152, vcc, s23, v116
	v_addc_co_u32_e32 v155, vcc, v144, v117, vcc
	v_add_co_u32_e32 v26, vcc, v152, v145
	v_pk_fma_f16 v32, v27, v31, v32
	v_addc_co_u32_e32 v27, vcc, v155, v143, vcc
	v_add_co_u32_e32 v28, vcc, v26, v75
	s_waitcnt vmcnt(4)
	v_pk_lshrrev_b16 v149, 8, v154 op_sel:[1,0] op_sel_hi:[0,0]
	v_addc_co_u32_e32 v29, vcc, 0, v27, vcc
	global_load_ushort v158, v[26:27], off
	global_load_dword v159, v[28:29], off offset:2
	v_lshrrev_b32_e32 v150, 16, v149
	v_cvt_f16_i16_sdwa v26, sext(v149) dst_sel:DWORD dst_unused:UNUSED_PAD src0_sel:BYTE_0
	v_cvt_f16_i16_sdwa v27, sext(v150) dst_sel:DWORD dst_unused:UNUSED_PAD src0_sel:BYTE_0
	v_pack_b32_f16 v26, v26, v27
	v_pk_mul_f16 v149, v26, v148
	v_add_co_u32_e32 v26, vcc, v152, v147
	v_addc_co_u32_e32 v27, vcc, v155, v146, vcc
	v_add_co_u32_e32 v28, vcc, v26, v77
	v_addc_co_u32_e32 v29, vcc, 0, v27, vcc
	global_load_ushort v152, v[26:27], off
	s_nop 0
	global_load_dword v28, v[28:29], off offset:2
	v_pk_lshrrev_b16 v150, 8, v154 op_sel:[1,1] op_sel_hi:[0,1]
	v_lshrrev_b32_e32 v26, 16, v150
	v_cvt_f16_i16_sdwa v27, sext(v150) dst_sel:DWORD dst_unused:UNUSED_PAD src0_sel:BYTE_0
	v_cvt_f16_i16_sdwa v26, sext(v26) dst_sel:DWORD dst_unused:UNUSED_PAD src0_sel:BYTE_0
	v_pack_b32_f16 v26, v27, v26
	v_pk_mul_f16 v26, v26, v148
	v_pk_fma_f16 v29, v149, v31, v30
	v_pk_fma_f16 v30, v26, v31, v22
	v_mul_u32_u24_sdwa v31, v23, s46 dst_sel:DWORD dst_unused:UNUSED_PAD src0_sel:WORD_1 src1_sel:DWORD
	s_waitcnt vmcnt(6)
	v_pk_lshrrev_b16 v23, 8, v157 op_sel:[1,0] op_sel_hi:[0,0]
	v_lshrrev_b32_e32 v26, 16, v23
	v_cvt_f16_i16_sdwa v23, sext(v23) dst_sel:DWORD dst_unused:UNUSED_PAD src0_sel:BYTE_0
	v_cvt_f16_i16_sdwa v26, sext(v26) dst_sel:DWORD dst_unused:UNUSED_PAD src0_sel:BYTE_0
	v_pack_b32_f16 v23, v23, v26
	v_pk_lshrrev_b16 v26, 8, v157 op_sel:[1,1] op_sel_hi:[0,1]
	v_lshrrev_b32_e32 v27, 16, v26
	v_cvt_f16_i16_sdwa v26, sext(v26) dst_sel:DWORD dst_unused:UNUSED_PAD src0_sel:BYTE_0
	v_cvt_f16_i16_sdwa v27, sext(v27) dst_sel:DWORD dst_unused:UNUSED_PAD src0_sel:BYTE_0
	v_mul_u32_u24_e32 v22, 0x10001, v156
	v_pack_b32_f16 v26, v26, v27
	v_pk_mul_f16 v23, v23, v22
	v_pk_mul_f16 v22, v26, v22
	v_pk_fma_f16 v33, v22, v31, v33
	s_waitcnt vmcnt(5)
	v_mul_u32_u24_e32 v148, 0x10001, v151
	v_add_co_u32_e32 v151, vcc, s23, v118
	v_addc_co_u32_e32 v154, vcc, v144, v119, vcc
	v_add_co_u32_e32 v22, vcc, v151, v145
	v_pk_fma_f16 v32, v23, v31, v32
	v_addc_co_u32_e32 v23, vcc, v154, v143, vcc
	v_add_co_u32_e32 v26, vcc, v22, v75
	v_addc_co_u32_e32 v27, vcc, 0, v23, vcc
	global_load_ushort v155, v[22:23], off
	global_load_dword v156, v[26:27], off offset:2
	s_waitcnt vmcnt(6)
	v_pk_lshrrev_b16 v149, 8, v153 op_sel:[1,0] op_sel_hi:[0,0]
	v_lshrrev_b32_e32 v150, 16, v149
	v_cvt_f16_i16_sdwa v22, sext(v149) dst_sel:DWORD dst_unused:UNUSED_PAD src0_sel:BYTE_0
	v_cvt_f16_i16_sdwa v23, sext(v150) dst_sel:DWORD dst_unused:UNUSED_PAD src0_sel:BYTE_0
	v_pack_b32_f16 v22, v22, v23
	v_pk_mul_f16 v149, v22, v148
	v_add_co_u32_e32 v22, vcc, v151, v147
	v_addc_co_u32_e32 v23, vcc, v154, v146, vcc
	v_pk_lshrrev_b16 v150, 8, v153 op_sel:[1,1] op_sel_hi:[0,1]
	v_add_co_u32_e32 v26, vcc, v22, v77
	v_addc_co_u32_e32 v27, vcc, 0, v23, vcc
	global_load_ushort v151, v[22:23], off
	global_load_dword v153, v[26:27], off offset:2
	v_lshrrev_b32_e32 v22, 16, v150
	v_cvt_f16_i16_sdwa v23, sext(v150) dst_sel:DWORD dst_unused:UNUSED_PAD src0_sel:BYTE_0
	v_cvt_f16_i16_sdwa v22, sext(v22) dst_sel:DWORD dst_unused:UNUSED_PAD src0_sel:BYTE_0
	v_pack_b32_f16 v22, v23, v22
	v_pk_mul_f16 v22, v22, v148
	v_pk_fma_f16 v30, v22, v31, v30
	v_pk_fma_f16 v29, v149, v31, v29
	v_mul_u32_u24_sdwa v31, v24, s46 dst_sel:DWORD dst_unused:UNUSED_PAD src0_sel:WORD_0 src1_sel:DWORD
	v_mul_u32_u24_sdwa v24, v24, s46 dst_sel:DWORD dst_unused:UNUSED_PAD src0_sel:WORD_1 src1_sel:DWORD
	s_waitcnt vmcnt(7)
	v_mul_u32_u24_e32 v22, 0x10001, v158
	s_waitcnt vmcnt(6)
	v_pk_lshrrev_b16 v23, 8, v159 op_sel:[1,0] op_sel_hi:[0,0]
	v_lshrrev_b32_e32 v26, 16, v23
	v_cvt_f16_i16_sdwa v23, sext(v23) dst_sel:DWORD dst_unused:UNUSED_PAD src0_sel:BYTE_0
	v_cvt_f16_i16_sdwa v26, sext(v26) dst_sel:DWORD dst_unused:UNUSED_PAD src0_sel:BYTE_0
	v_pack_b32_f16 v23, v23, v26
	v_pk_lshrrev_b16 v26, 8, v159 op_sel:[1,1] op_sel_hi:[0,1]
	v_lshrrev_b32_e32 v27, 16, v26
	v_cvt_f16_i16_sdwa v26, sext(v26) dst_sel:DWORD dst_unused:UNUSED_PAD src0_sel:BYTE_0
	v_cvt_f16_i16_sdwa v27, sext(v27) dst_sel:DWORD dst_unused:UNUSED_PAD src0_sel:BYTE_0
	v_pack_b32_f16 v26, v26, v27
	v_pk_mul_f16 v23, v23, v22
	v_pk_mul_f16 v22, v26, v22
	v_pk_fma_f16 v33, v22, v31, v33
	s_waitcnt vmcnt(5)
	v_mul_u32_u24_e32 v148, 0x10001, v152
	v_add_co_u32_e32 v152, vcc, s23, v120
	v_addc_co_u32_e32 v154, vcc, v144, v121, vcc
	v_add_co_u32_e32 v22, vcc, v152, v145
	v_pk_fma_f16 v32, v23, v31, v32
	v_addc_co_u32_e32 v23, vcc, v154, v143, vcc
	v_add_co_u32_e32 v26, vcc, v22, v75
	s_waitcnt vmcnt(4)
	v_pk_lshrrev_b16 v149, 8, v28 op_sel:[1,0] op_sel_hi:[0,0]
	v_addc_co_u32_e32 v27, vcc, 0, v23, vcc
	global_load_ushort v157, v[22:23], off
	global_load_dword v158, v[26:27], off offset:2
	v_lshrrev_b32_e32 v150, 16, v149
	v_cvt_f16_i16_sdwa v22, sext(v149) dst_sel:DWORD dst_unused:UNUSED_PAD src0_sel:BYTE_0
	v_cvt_f16_i16_sdwa v23, sext(v150) dst_sel:DWORD dst_unused:UNUSED_PAD src0_sel:BYTE_0
	v_pack_b32_f16 v22, v22, v23
	v_pk_mul_f16 v149, v22, v148
	v_add_co_u32_e32 v22, vcc, v152, v147
	v_addc_co_u32_e32 v23, vcc, v154, v146, vcc
	v_add_co_u32_e32 v26, vcc, v22, v77
	v_addc_co_u32_e32 v27, vcc, 0, v23, vcc
	global_load_ushort v150, v[22:23], off
	global_load_dword v152, v[26:27], off offset:2
	v_pk_lshrrev_b16 v28, 8, v28 op_sel:[1,1] op_sel_hi:[0,1]
	v_lshrrev_b32_e32 v22, 16, v28
	v_cvt_f16_i16_sdwa v23, sext(v28) dst_sel:DWORD dst_unused:UNUSED_PAD src0_sel:BYTE_0
	v_cvt_f16_i16_sdwa v22, sext(v22) dst_sel:DWORD dst_unused:UNUSED_PAD src0_sel:BYTE_0
	v_pack_b32_f16 v22, v23, v22
	v_pk_mul_f16 v22, v22, v148
	v_pk_fma_f16 v28, v149, v31, v29
	v_pk_fma_f16 v29, v22, v31, v30
	s_waitcnt vmcnt(7)
	v_mul_u32_u24_e32 v22, 0x10001, v155
	s_waitcnt vmcnt(6)
	v_pk_lshrrev_b16 v23, 8, v156 op_sel:[1,0] op_sel_hi:[0,0]
	v_lshrrev_b32_e32 v26, 16, v23
	v_cvt_f16_i16_sdwa v23, sext(v23) dst_sel:DWORD dst_unused:UNUSED_PAD src0_sel:BYTE_0
	v_cvt_f16_i16_sdwa v26, sext(v26) dst_sel:DWORD dst_unused:UNUSED_PAD src0_sel:BYTE_0
	v_pack_b32_f16 v23, v23, v26
	v_pk_lshrrev_b16 v26, 8, v156 op_sel:[1,1] op_sel_hi:[0,1]
	v_lshrrev_b32_e32 v27, 16, v26
	v_cvt_f16_i16_sdwa v26, sext(v26) dst_sel:DWORD dst_unused:UNUSED_PAD src0_sel:BYTE_0
	v_cvt_f16_i16_sdwa v27, sext(v27) dst_sel:DWORD dst_unused:UNUSED_PAD src0_sel:BYTE_0
	v_pk_mul_f16 v23, v23, v22
	v_pack_b32_f16 v26, v26, v27
	v_add_co_u32_e32 v149, vcc, s23, v122
	v_pk_mul_f16 v22, v26, v22
	v_pk_fma_f16 v30, v23, v24, v32
	s_waitcnt vmcnt(5)
	v_mul_u32_u24_e32 v32, 0x10001, v151
	v_addc_co_u32_e32 v151, vcc, v144, v123, vcc
	v_pk_fma_f16 v31, v22, v24, v33
	v_add_co_u32_e32 v22, vcc, v149, v145
	v_addc_co_u32_e32 v23, vcc, v151, v143, vcc
	v_add_co_u32_e32 v26, vcc, v22, v75
	s_waitcnt vmcnt(4)
	v_pk_lshrrev_b16 v33, 8, v153 op_sel:[1,0] op_sel_hi:[0,0]
	v_addc_co_u32_e32 v27, vcc, 0, v23, vcc
	global_load_ushort v154, v[22:23], off
	global_load_dword v155, v[26:27], off offset:2
	v_lshrrev_b32_e32 v148, 16, v33
	v_cvt_f16_i16_sdwa v22, sext(v33) dst_sel:DWORD dst_unused:UNUSED_PAD src0_sel:BYTE_0
	v_cvt_f16_i16_sdwa v23, sext(v148) dst_sel:DWORD dst_unused:UNUSED_PAD src0_sel:BYTE_0
	v_pack_b32_f16 v22, v22, v23
	v_pk_mul_f16 v33, v22, v32
	v_add_co_u32_e32 v22, vcc, v149, v147
	v_addc_co_u32_e32 v23, vcc, v151, v146, vcc
	v_add_co_u32_e32 v26, vcc, v22, v77
	v_pk_lshrrev_b16 v148, 8, v153 op_sel:[1,1] op_sel_hi:[0,1]
	v_addc_co_u32_e32 v27, vcc, 0, v23, vcc
	global_load_ushort v149, v[22:23], off
	global_load_dword v151, v[26:27], off offset:2
	v_lshrrev_b32_e32 v22, 16, v148
	v_cvt_f16_i16_sdwa v23, sext(v148) dst_sel:DWORD dst_unused:UNUSED_PAD src0_sel:BYTE_0
	v_cvt_f16_i16_sdwa v22, sext(v22) dst_sel:DWORD dst_unused:UNUSED_PAD src0_sel:BYTE_0
	v_pack_b32_f16 v22, v23, v22
	v_pk_mul_f16 v22, v22, v32
	v_pk_fma_f16 v28, v33, v24, v28
	v_pk_fma_f16 v24, v22, v24, v29
	v_mul_u32_u24_sdwa v29, v25, s46 dst_sel:DWORD dst_unused:UNUSED_PAD src0_sel:WORD_0 src1_sel:DWORD
	s_waitcnt vmcnt(7)
	v_mul_u32_u24_e32 v22, 0x10001, v157
	s_waitcnt vmcnt(6)
	v_pk_lshrrev_b16 v23, 8, v158 op_sel:[1,0] op_sel_hi:[0,0]
	v_lshrrev_b32_e32 v26, 16, v23
	v_cvt_f16_i16_sdwa v23, sext(v23) dst_sel:DWORD dst_unused:UNUSED_PAD src0_sel:BYTE_0
	v_cvt_f16_i16_sdwa v26, sext(v26) dst_sel:DWORD dst_unused:UNUSED_PAD src0_sel:BYTE_0
	v_pack_b32_f16 v23, v23, v26
	v_pk_lshrrev_b16 v26, 8, v158 op_sel:[1,1] op_sel_hi:[0,1]
	v_lshrrev_b32_e32 v27, 16, v26
	v_cvt_f16_i16_sdwa v26, sext(v26) dst_sel:DWORD dst_unused:UNUSED_PAD src0_sel:BYTE_0
	v_cvt_f16_i16_sdwa v27, sext(v27) dst_sel:DWORD dst_unused:UNUSED_PAD src0_sel:BYTE_0
	v_pack_b32_f16 v26, v26, v27
	v_pk_mul_f16 v23, v23, v22
	v_pk_mul_f16 v22, v26, v22
	v_pk_fma_f16 v31, v22, v29, v31
	s_waitcnt vmcnt(5)
	v_mul_u32_u24_e32 v32, 0x10001, v150
	v_add_co_u32_e32 v150, vcc, s23, v124
	v_addc_co_u32_e32 v153, vcc, v144, v125, vcc
	v_add_co_u32_e32 v22, vcc, v150, v145
	v_pk_fma_f16 v30, v23, v29, v30
	v_addc_co_u32_e32 v23, vcc, v153, v143, vcc
	v_add_co_u32_e32 v26, vcc, v22, v75
	s_waitcnt vmcnt(4)
	v_pk_lshrrev_b16 v33, 8, v152 op_sel:[1,0] op_sel_hi:[0,0]
	v_addc_co_u32_e32 v27, vcc, 0, v23, vcc
	global_load_ushort v156, v[22:23], off
	global_load_dword v157, v[26:27], off offset:2
	v_lshrrev_b32_e32 v148, 16, v33
	v_cvt_f16_i16_sdwa v22, sext(v33) dst_sel:DWORD dst_unused:UNUSED_PAD src0_sel:BYTE_0
	v_cvt_f16_i16_sdwa v23, sext(v148) dst_sel:DWORD dst_unused:UNUSED_PAD src0_sel:BYTE_0
	v_pack_b32_f16 v22, v22, v23
	v_pk_mul_f16 v33, v22, v32
	v_add_co_u32_e32 v22, vcc, v150, v147
	v_addc_co_u32_e32 v23, vcc, v153, v146, vcc
	v_add_co_u32_e32 v26, vcc, v22, v77
	v_addc_co_u32_e32 v27, vcc, 0, v23, vcc
	global_load_ushort v150, v[22:23], off
	s_nop 0
	global_load_dword v26, v[26:27], off offset:2
	v_pk_lshrrev_b16 v148, 8, v152 op_sel:[1,1] op_sel_hi:[0,1]
	v_lshrrev_b32_e32 v22, 16, v148
	v_cvt_f16_i16_sdwa v23, sext(v148) dst_sel:DWORD dst_unused:UNUSED_PAD src0_sel:BYTE_0
	v_cvt_f16_i16_sdwa v22, sext(v22) dst_sel:DWORD dst_unused:UNUSED_PAD src0_sel:BYTE_0
	v_pack_b32_f16 v22, v23, v22
	v_pk_mul_f16 v22, v22, v32
	v_pk_fma_f16 v27, v33, v29, v28
	v_pk_fma_f16 v28, v22, v29, v24
	v_mul_u32_u24_sdwa v29, v25, s46 dst_sel:DWORD dst_unused:UNUSED_PAD src0_sel:WORD_1 src1_sel:DWORD
	s_waitcnt vmcnt(6)
	v_pk_lshrrev_b16 v23, 8, v155 op_sel:[1,0] op_sel_hi:[0,0]
	v_lshrrev_b32_e32 v24, 16, v23
	v_cvt_f16_i16_sdwa v23, sext(v23) dst_sel:DWORD dst_unused:UNUSED_PAD src0_sel:BYTE_0
	v_cvt_f16_i16_sdwa v24, sext(v24) dst_sel:DWORD dst_unused:UNUSED_PAD src0_sel:BYTE_0
	v_pack_b32_f16 v23, v23, v24
	v_pk_lshrrev_b16 v24, 8, v155 op_sel:[1,1] op_sel_hi:[0,1]
	v_lshrrev_b32_e32 v25, 16, v24
	v_cvt_f16_i16_sdwa v24, sext(v24) dst_sel:DWORD dst_unused:UNUSED_PAD src0_sel:BYTE_0
	v_cvt_f16_i16_sdwa v25, sext(v25) dst_sel:DWORD dst_unused:UNUSED_PAD src0_sel:BYTE_0
	v_mul_u32_u24_e32 v22, 0x10001, v154
	v_pack_b32_f16 v24, v24, v25
	v_pk_mul_f16 v23, v23, v22
	v_pk_mul_f16 v22, v24, v22
	v_pk_fma_f16 v31, v22, v29, v31
	s_waitcnt vmcnt(5)
	v_mul_u32_u24_e32 v32, 0x10001, v149
	v_add_co_u32_e32 v149, vcc, s23, v126
	v_addc_co_u32_e32 v152, vcc, v144, v127, vcc
	v_add_co_u32_e32 v22, vcc, v149, v145
	v_pk_fma_f16 v30, v23, v29, v30
	v_addc_co_u32_e32 v23, vcc, v152, v143, vcc
	v_add_co_u32_e32 v24, vcc, v22, v75
	v_addc_co_u32_e32 v25, vcc, 0, v23, vcc
	global_load_ushort v153, v[22:23], off
	global_load_dword v154, v[24:25], off offset:2
	s_waitcnt vmcnt(6)
	v_pk_lshrrev_b16 v33, 8, v151 op_sel:[1,0] op_sel_hi:[0,0]
	v_lshrrev_b32_e32 v148, 16, v33
	v_cvt_f16_i16_sdwa v22, sext(v33) dst_sel:DWORD dst_unused:UNUSED_PAD src0_sel:BYTE_0
	v_cvt_f16_i16_sdwa v23, sext(v148) dst_sel:DWORD dst_unused:UNUSED_PAD src0_sel:BYTE_0
	v_pack_b32_f16 v22, v22, v23
	v_pk_mul_f16 v33, v22, v32
	v_add_co_u32_e32 v22, vcc, v149, v147
	v_addc_co_u32_e32 v23, vcc, v152, v146, vcc
	v_pk_lshrrev_b16 v148, 8, v151 op_sel:[1,1] op_sel_hi:[0,1]
	v_add_co_u32_e32 v24, vcc, v22, v77
	v_addc_co_u32_e32 v25, vcc, 0, v23, vcc
	global_load_ushort v149, v[22:23], off
	global_load_dword v151, v[24:25], off offset:2
	v_lshrrev_b32_e32 v22, 16, v148
	v_cvt_f16_i16_sdwa v23, sext(v148) dst_sel:DWORD dst_unused:UNUSED_PAD src0_sel:BYTE_0
	v_cvt_f16_i16_sdwa v22, sext(v22) dst_sel:DWORD dst_unused:UNUSED_PAD src0_sel:BYTE_0
	v_pack_b32_f16 v22, v23, v22
	v_pk_mul_f16 v22, v22, v32
	v_pk_fma_f16 v28, v22, v29, v28
	v_pk_fma_f16 v27, v33, v29, v27
	s_waitcnt lgkmcnt(0)
	v_mul_u32_u24_sdwa v29, v18, s46 dst_sel:DWORD dst_unused:UNUSED_PAD src0_sel:WORD_0 src1_sel:DWORD
	v_mul_u32_u24_sdwa v18, v18, s46 dst_sel:DWORD dst_unused:UNUSED_PAD src0_sel:WORD_1 src1_sel:DWORD
	s_waitcnt vmcnt(7)
	v_mul_u32_u24_e32 v22, 0x10001, v156
	s_waitcnt vmcnt(6)
	v_pk_lshrrev_b16 v23, 8, v157 op_sel:[1,0] op_sel_hi:[0,0]
	v_lshrrev_b32_e32 v24, 16, v23
	v_cvt_f16_i16_sdwa v23, sext(v23) dst_sel:DWORD dst_unused:UNUSED_PAD src0_sel:BYTE_0
	v_cvt_f16_i16_sdwa v24, sext(v24) dst_sel:DWORD dst_unused:UNUSED_PAD src0_sel:BYTE_0
	v_pack_b32_f16 v23, v23, v24
	v_pk_lshrrev_b16 v24, 8, v157 op_sel:[1,1] op_sel_hi:[0,1]
	v_lshrrev_b32_e32 v25, 16, v24
	v_cvt_f16_i16_sdwa v24, sext(v24) dst_sel:DWORD dst_unused:UNUSED_PAD src0_sel:BYTE_0
	v_cvt_f16_i16_sdwa v25, sext(v25) dst_sel:DWORD dst_unused:UNUSED_PAD src0_sel:BYTE_0
	v_pack_b32_f16 v24, v24, v25
	v_pk_mul_f16 v23, v23, v22
	v_pk_mul_f16 v22, v24, v22
	v_pk_fma_f16 v31, v22, v29, v31
	s_waitcnt vmcnt(5)
	v_mul_u32_u24_e32 v32, 0x10001, v150
	v_add_co_u32_e32 v150, vcc, s23, v128
	v_addc_co_u32_e32 v152, vcc, v144, v129, vcc
	v_add_co_u32_e32 v22, vcc, v150, v145
	v_pk_fma_f16 v30, v23, v29, v30
	v_addc_co_u32_e32 v23, vcc, v152, v143, vcc
	v_add_co_u32_e32 v24, vcc, v22, v75
	s_waitcnt vmcnt(4)
	v_pk_lshrrev_b16 v33, 8, v26 op_sel:[1,0] op_sel_hi:[0,0]
	v_addc_co_u32_e32 v25, vcc, 0, v23, vcc
	global_load_ushort v155, v[22:23], off
	global_load_dword v156, v[24:25], off offset:2
	v_lshrrev_b32_e32 v148, 16, v33
	v_cvt_f16_i16_sdwa v22, sext(v33) dst_sel:DWORD dst_unused:UNUSED_PAD src0_sel:BYTE_0
	v_cvt_f16_i16_sdwa v23, sext(v148) dst_sel:DWORD dst_unused:UNUSED_PAD src0_sel:BYTE_0
	v_pack_b32_f16 v22, v22, v23
	v_pk_mul_f16 v33, v22, v32
	v_add_co_u32_e32 v22, vcc, v150, v147
	v_addc_co_u32_e32 v23, vcc, v152, v146, vcc
	v_add_co_u32_e32 v24, vcc, v22, v77
	v_addc_co_u32_e32 v25, vcc, 0, v23, vcc
	global_load_ushort v148, v[22:23], off
	global_load_dword v150, v[24:25], off offset:2
	v_pk_lshrrev_b16 v26, 8, v26 op_sel:[1,1] op_sel_hi:[0,1]
	v_lshrrev_b32_e32 v22, 16, v26
	v_cvt_f16_i16_sdwa v23, sext(v26) dst_sel:DWORD dst_unused:UNUSED_PAD src0_sel:BYTE_0
	v_cvt_f16_i16_sdwa v22, sext(v22) dst_sel:DWORD dst_unused:UNUSED_PAD src0_sel:BYTE_0
	v_pack_b32_f16 v22, v23, v22
	v_pk_mul_f16 v22, v22, v32
	v_pk_fma_f16 v26, v33, v29, v27
	v_pk_fma_f16 v27, v22, v29, v28
	s_waitcnt vmcnt(7)
	v_mul_u32_u24_e32 v22, 0x10001, v153
	s_waitcnt vmcnt(6)
	v_pk_lshrrev_b16 v23, 8, v154 op_sel:[1,0] op_sel_hi:[0,0]
	v_lshrrev_b32_e32 v24, 16, v23
	v_cvt_f16_i16_sdwa v23, sext(v23) dst_sel:DWORD dst_unused:UNUSED_PAD src0_sel:BYTE_0
	v_cvt_f16_i16_sdwa v24, sext(v24) dst_sel:DWORD dst_unused:UNUSED_PAD src0_sel:BYTE_0
	v_pack_b32_f16 v23, v23, v24
	v_pk_lshrrev_b16 v24, 8, v154 op_sel:[1,1] op_sel_hi:[0,1]
	v_lshrrev_b32_e32 v25, 16, v24
	v_cvt_f16_i16_sdwa v24, sext(v24) dst_sel:DWORD dst_unused:UNUSED_PAD src0_sel:BYTE_0
	v_cvt_f16_i16_sdwa v25, sext(v25) dst_sel:DWORD dst_unused:UNUSED_PAD src0_sel:BYTE_0
	v_pk_mul_f16 v23, v23, v22
	v_pack_b32_f16 v24, v24, v25
	v_add_co_u32_e32 v33, vcc, s23, v130
	v_pk_mul_f16 v22, v24, v22
	v_pk_fma_f16 v28, v23, v18, v30
	s_waitcnt vmcnt(5)
	v_mul_u32_u24_e32 v30, 0x10001, v149
	v_addc_co_u32_e32 v149, vcc, v144, v131, vcc
	v_pk_fma_f16 v29, v22, v18, v31
	v_add_co_u32_e32 v22, vcc, v33, v145
	v_addc_co_u32_e32 v23, vcc, v149, v143, vcc
	s_waitcnt vmcnt(4)
	v_pk_lshrrev_b16 v31, 8, v151 op_sel:[1,0] op_sel_hi:[0,0]
	v_add_co_u32_e32 v24, vcc, v22, v75
	v_lshrrev_b32_e32 v32, 16, v31
	v_addc_co_u32_e32 v25, vcc, 0, v23, vcc
	global_load_ushort v152, v[22:23], off
	global_load_dword v153, v[24:25], off offset:2
	v_cvt_f16_i16_sdwa v22, sext(v31) dst_sel:DWORD dst_unused:UNUSED_PAD src0_sel:BYTE_0
	v_cvt_f16_i16_sdwa v23, sext(v32) dst_sel:DWORD dst_unused:UNUSED_PAD src0_sel:BYTE_0
	v_pack_b32_f16 v22, v22, v23
	v_pk_mul_f16 v31, v22, v30
	v_add_co_u32_e32 v22, vcc, v33, v147
	v_addc_co_u32_e32 v23, vcc, v149, v146, vcc
	v_add_co_u32_e32 v24, vcc, v22, v77
	v_addc_co_u32_e32 v25, vcc, 0, v23, vcc
	global_load_ushort v33, v[22:23], off
	global_load_dword v149, v[24:25], off offset:2
	v_pk_lshrrev_b16 v32, 8, v151 op_sel:[1,1] op_sel_hi:[0,1]
	v_lshrrev_b32_e32 v22, 16, v32
	v_cvt_f16_i16_sdwa v23, sext(v32) dst_sel:DWORD dst_unused:UNUSED_PAD src0_sel:BYTE_0
	v_cvt_f16_i16_sdwa v22, sext(v22) dst_sel:DWORD dst_unused:UNUSED_PAD src0_sel:BYTE_0
	v_pack_b32_f16 v22, v23, v22
	v_pk_mul_f16 v22, v22, v30
	v_pk_fma_f16 v26, v31, v18, v26
	v_pk_fma_f16 v18, v22, v18, v27
	v_mul_u32_u24_sdwa v27, v19, s46 dst_sel:DWORD dst_unused:UNUSED_PAD src0_sel:WORD_0 src1_sel:DWORD
	v_mul_u32_u24_sdwa v19, v19, s46 dst_sel:DWORD dst_unused:UNUSED_PAD src0_sel:WORD_1 src1_sel:DWORD
	s_waitcnt vmcnt(7)
	v_mul_u32_u24_e32 v22, 0x10001, v155
	s_waitcnt vmcnt(6)
	v_pk_lshrrev_b16 v23, 8, v156 op_sel:[1,0] op_sel_hi:[0,0]
	v_lshrrev_b32_e32 v24, 16, v23
	v_cvt_f16_i16_sdwa v23, sext(v23) dst_sel:DWORD dst_unused:UNUSED_PAD src0_sel:BYTE_0
	v_cvt_f16_i16_sdwa v24, sext(v24) dst_sel:DWORD dst_unused:UNUSED_PAD src0_sel:BYTE_0
	v_pack_b32_f16 v23, v23, v24
	v_pk_lshrrev_b16 v24, 8, v156 op_sel:[1,1] op_sel_hi:[0,1]
	v_lshrrev_b32_e32 v25, 16, v24
	v_cvt_f16_i16_sdwa v24, sext(v24) dst_sel:DWORD dst_unused:UNUSED_PAD src0_sel:BYTE_0
	v_cvt_f16_i16_sdwa v25, sext(v25) dst_sel:DWORD dst_unused:UNUSED_PAD src0_sel:BYTE_0
	v_pack_b32_f16 v24, v24, v25
	v_pk_mul_f16 v23, v23, v22
	v_pk_mul_f16 v22, v24, v22
	v_pk_fma_f16 v29, v22, v27, v29
	s_waitcnt vmcnt(5)
	v_mul_u32_u24_e32 v30, 0x10001, v148
	v_add_co_u32_e32 v148, vcc, s23, v132
	v_addc_co_u32_e32 v151, vcc, v144, v133, vcc
	v_add_co_u32_e32 v22, vcc, v148, v145
	v_pk_fma_f16 v28, v23, v27, v28
	v_addc_co_u32_e32 v23, vcc, v151, v143, vcc
	v_add_co_u32_e32 v24, vcc, v22, v75
	v_addc_co_u32_e32 v25, vcc, 0, v23, vcc
	global_load_ushort v154, v[22:23], off
	global_load_dword v155, v[24:25], off offset:2
	s_waitcnt vmcnt(6)
	v_pk_lshrrev_b16 v31, 8, v150 op_sel:[1,0] op_sel_hi:[0,0]
	v_lshrrev_b32_e32 v32, 16, v31
	v_cvt_f16_i16_sdwa v22, sext(v31) dst_sel:DWORD dst_unused:UNUSED_PAD src0_sel:BYTE_0
	v_cvt_f16_i16_sdwa v23, sext(v32) dst_sel:DWORD dst_unused:UNUSED_PAD src0_sel:BYTE_0
	v_pack_b32_f16 v22, v22, v23
	v_pk_mul_f16 v31, v22, v30
	v_add_co_u32_e32 v22, vcc, v148, v147
	v_addc_co_u32_e32 v23, vcc, v151, v146, vcc
	v_add_co_u32_e32 v24, vcc, v22, v77
	v_pk_lshrrev_b16 v32, 8, v150 op_sel:[1,1] op_sel_hi:[0,1]
	v_addc_co_u32_e32 v25, vcc, 0, v23, vcc
	global_load_ushort v148, v[22:23], off
	global_load_dword v150, v[24:25], off offset:2
	v_lshrrev_b32_e32 v22, 16, v32
	v_cvt_f16_i16_sdwa v23, sext(v32) dst_sel:DWORD dst_unused:UNUSED_PAD src0_sel:BYTE_0
	v_cvt_f16_i16_sdwa v22, sext(v22) dst_sel:DWORD dst_unused:UNUSED_PAD src0_sel:BYTE_0
	v_pack_b32_f16 v22, v23, v22
	v_pk_mul_f16 v22, v22, v30
	v_pk_fma_f16 v23, v31, v27, v26
	v_pk_fma_f16 v18, v22, v27, v18
	v_mul_u32_u24_sdwa v32, v20, s46 dst_sel:DWORD dst_unused:UNUSED_PAD src0_sel:WORD_0 src1_sel:DWORD
	s_waitcnt vmcnt(7)
	v_mul_u32_u24_e32 v22, 0x10001, v152
	s_waitcnt vmcnt(6)
	v_pk_lshrrev_b16 v24, 8, v153 op_sel:[1,0] op_sel_hi:[0,0]
	v_lshrrev_b32_e32 v25, 16, v24
	v_cvt_f16_i16_sdwa v24, sext(v24) dst_sel:DWORD dst_unused:UNUSED_PAD src0_sel:BYTE_0
	v_cvt_f16_i16_sdwa v25, sext(v25) dst_sel:DWORD dst_unused:UNUSED_PAD src0_sel:BYTE_0
	v_pack_b32_f16 v24, v24, v25
	v_pk_lshrrev_b16 v25, 8, v153 op_sel:[1,1] op_sel_hi:[0,1]
	v_lshrrev_b32_e32 v26, 16, v25
	v_pk_mul_f16 v24, v24, v22
	v_cvt_f16_i16_sdwa v25, sext(v25) dst_sel:DWORD dst_unused:UNUSED_PAD src0_sel:BYTE_0
	v_cvt_f16_i16_sdwa v26, sext(v26) dst_sel:DWORD dst_unused:UNUSED_PAD src0_sel:BYTE_0
	v_pack_b32_f16 v25, v25, v26
	v_pk_fma_f16 v28, v24, v19, v28
	v_pk_mul_f16 v22, v25, v22
	s_waitcnt vmcnt(4)
	v_pk_lshrrev_b16 v24, 8, v149 op_sel:[1,0] op_sel_hi:[0,0]
	v_lshrrev_b32_e32 v25, 16, v24
	v_cvt_f16_i16_sdwa v24, sext(v24) dst_sel:DWORD dst_unused:UNUSED_PAD src0_sel:BYTE_0
	v_cvt_f16_i16_sdwa v25, sext(v25) dst_sel:DWORD dst_unused:UNUSED_PAD src0_sel:BYTE_0
	v_pack_b32_f16 v24, v24, v25
	v_pk_lshrrev_b16 v25, 8, v149 op_sel:[1,1] op_sel_hi:[0,1]
	v_pk_fma_f16 v29, v22, v19, v29
	v_mul_u32_u24_e32 v22, 0x10001, v33
	v_lshrrev_b32_e32 v26, 16, v25
	v_pk_mul_f16 v24, v24, v22
	v_cvt_f16_i16_sdwa v25, sext(v25) dst_sel:DWORD dst_unused:UNUSED_PAD src0_sel:BYTE_0
	v_cvt_f16_i16_sdwa v26, sext(v26) dst_sel:DWORD dst_unused:UNUSED_PAD src0_sel:BYTE_0
	v_pack_b32_f16 v25, v25, v26
	v_pk_fma_f16 v30, v24, v19, v23
	v_add_co_u32_e32 v24, vcc, s23, v134
	v_pk_mul_f16 v22, v25, v22
	v_addc_co_u32_e32 v25, vcc, v144, v135, vcc
	v_pk_fma_f16 v31, v22, v19, v18
	v_add_co_u32_e32 v18, vcc, v24, v145
	v_addc_co_u32_e32 v19, vcc, v25, v143, vcc
	v_add_co_u32_e32 v22, vcc, v18, v75
	v_addc_co_u32_e32 v23, vcc, 0, v19, vcc
	;; [unrolled: 2-line block ×4, first 2 shown]
	global_load_ushort v33, v[18:19], off
	global_load_dword v149, v[22:23], off offset:2
	s_nop 0
	global_load_ushort v24, v[24:25], off
	s_nop 0
	global_load_dword v25, v[26:27], off offset:2
	v_add_co_u32_e32 v151, vcc, s23, v136
	v_addc_co_u32_e32 v152, vcc, v144, v137, vcc
	s_waitcnt vmcnt(6)
	v_pk_lshrrev_b16 v19, 8, v155 op_sel:[1,0] op_sel_hi:[0,0]
	v_lshrrev_b32_e32 v22, 16, v19
	v_cvt_f16_i16_sdwa v19, sext(v19) dst_sel:DWORD dst_unused:UNUSED_PAD src0_sel:BYTE_0
	v_cvt_f16_i16_sdwa v22, sext(v22) dst_sel:DWORD dst_unused:UNUSED_PAD src0_sel:BYTE_0
	v_pack_b32_f16 v19, v19, v22
	v_pk_lshrrev_b16 v22, 8, v155 op_sel:[1,1] op_sel_hi:[0,1]
	v_lshrrev_b32_e32 v23, 16, v22
	v_cvt_f16_i16_sdwa v22, sext(v22) dst_sel:DWORD dst_unused:UNUSED_PAD src0_sel:BYTE_0
	v_cvt_f16_i16_sdwa v23, sext(v23) dst_sel:DWORD dst_unused:UNUSED_PAD src0_sel:BYTE_0
	v_mul_u32_u24_e32 v18, 0x10001, v154
	v_pack_b32_f16 v22, v22, v23
	v_pk_mul_f16 v19, v19, v18
	v_pk_mul_f16 v18, v22, v18
	v_pk_fma_f16 v27, v18, v32, v29
	v_add_co_u32_e32 v18, vcc, v151, v145
	v_pk_fma_f16 v26, v19, v32, v28
	v_addc_co_u32_e32 v19, vcc, v152, v143, vcc
	s_waitcnt vmcnt(4)
	v_pk_lshrrev_b16 v29, 8, v150 op_sel:[1,0] op_sel_hi:[0,0]
	v_add_co_u32_e32 v22, vcc, v18, v75
	v_mul_u32_u24_e32 v28, 0x10001, v148
	v_lshrrev_b32_e32 v148, 16, v29
	v_addc_co_u32_e32 v23, vcc, 0, v19, vcc
	global_load_ushort v153, v[18:19], off
	global_load_dword v154, v[22:23], off offset:2
	v_cvt_f16_i16_sdwa v18, sext(v29) dst_sel:DWORD dst_unused:UNUSED_PAD src0_sel:BYTE_0
	v_cvt_f16_i16_sdwa v19, sext(v148) dst_sel:DWORD dst_unused:UNUSED_PAD src0_sel:BYTE_0
	v_pack_b32_f16 v18, v18, v19
	v_pk_mul_f16 v29, v18, v28
	v_add_co_u32_e32 v18, vcc, v151, v147
	v_addc_co_u32_e32 v19, vcc, v152, v146, vcc
	v_add_co_u32_e32 v22, vcc, v18, v77
	v_pk_lshrrev_b16 v148, 8, v150 op_sel:[1,1] op_sel_hi:[0,1]
	v_addc_co_u32_e32 v23, vcc, 0, v19, vcc
	global_load_ushort v150, v[18:19], off
	global_load_dword v151, v[22:23], off offset:2
	v_add_co_u32_e32 v155, vcc, s23, v138
	v_addc_co_u32_e32 v144, vcc, v144, v139, vcc
	v_add_co_u32_e32 v18, vcc, v155, v145
	v_addc_co_u32_e32 v19, vcc, v144, v143, vcc
	;; [unrolled: 2-line block ×3, first 2 shown]
	global_load_ushort v143, v[18:19], off
	global_load_dword v145, v[22:23], off offset:2
	v_lshrrev_b32_e32 v152, 16, v148
	v_cvt_f16_i16_sdwa v148, sext(v148) dst_sel:DWORD dst_unused:UNUSED_PAD src0_sel:BYTE_0
	v_cvt_f16_i16_sdwa v18, sext(v152) dst_sel:DWORD dst_unused:UNUSED_PAD src0_sel:BYTE_0
	v_pack_b32_f16 v18, v148, v18
	v_pk_mul_f16 v18, v18, v28
	v_pk_fma_f16 v28, v29, v32, v30
	v_pk_fma_f16 v29, v18, v32, v31
	v_add_co_u32_e32 v18, vcc, v155, v147
	v_addc_co_u32_e32 v19, vcc, v144, v146, vcc
	v_add_co_u32_e32 v22, vcc, v18, v77
	v_addc_co_u32_e32 v23, vcc, 0, v19, vcc
	global_load_ushort v18, v[18:19], off
	s_nop 0
	global_load_dword v19, v[22:23], off offset:2
	v_mul_u32_u24_sdwa v20, v20, s46 dst_sel:DWORD dst_unused:UNUSED_PAD src0_sel:WORD_1 src1_sel:DWORD
	s_add_u32 s23, s23, s42
	s_waitcnt vmcnt(11)
	v_mul_u32_u24_e32 v22, 0x10001, v33
	s_waitcnt vmcnt(10)
	v_pk_lshrrev_b16 v23, 8, v149 op_sel:[1,0] op_sel_hi:[0,0]
	v_lshrrev_b32_e32 v30, 16, v23
	v_cvt_f16_i16_sdwa v23, sext(v23) dst_sel:DWORD dst_unused:UNUSED_PAD src0_sel:BYTE_0
	v_cvt_f16_i16_sdwa v30, sext(v30) dst_sel:DWORD dst_unused:UNUSED_PAD src0_sel:BYTE_0
	v_pack_b32_f16 v23, v23, v30
	v_pk_lshrrev_b16 v30, 8, v149 op_sel:[1,1] op_sel_hi:[0,1]
	v_lshrrev_b32_e32 v31, 16, v30
	v_cvt_f16_i16_sdwa v30, sext(v30) dst_sel:DWORD dst_unused:UNUSED_PAD src0_sel:BYTE_0
	v_cvt_f16_i16_sdwa v31, sext(v31) dst_sel:DWORD dst_unused:UNUSED_PAD src0_sel:BYTE_0
	v_pk_mul_f16 v23, v23, v22
	v_pack_b32_f16 v30, v30, v31
	v_pk_mul_f16 v22, v30, v22
	v_pk_fma_f16 v23, v23, v20, v26
	s_waitcnt vmcnt(8)
	v_pk_lshrrev_b16 v26, 8, v25 op_sel:[1,0] op_sel_hi:[0,0]
	v_pk_fma_f16 v22, v22, v20, v27
	v_lshrrev_b32_e32 v27, 16, v26
	v_cvt_f16_i16_sdwa v26, sext(v26) dst_sel:DWORD dst_unused:UNUSED_PAD src0_sel:BYTE_0
	v_cvt_f16_i16_sdwa v27, sext(v27) dst_sel:DWORD dst_unused:UNUSED_PAD src0_sel:BYTE_0
	v_pk_lshrrev_b16 v25, 8, v25 op_sel:[1,1] op_sel_hi:[0,1]
	v_pack_b32_f16 v26, v26, v27
	v_lshrrev_b32_e32 v27, 16, v25
	v_mul_u32_u24_e32 v24, 0x10001, v24
	v_cvt_f16_i16_sdwa v25, sext(v25) dst_sel:DWORD dst_unused:UNUSED_PAD src0_sel:BYTE_0
	v_cvt_f16_i16_sdwa v27, sext(v27) dst_sel:DWORD dst_unused:UNUSED_PAD src0_sel:BYTE_0
	v_pk_mul_f16 v26, v26, v24
	v_pack_b32_f16 v25, v25, v27
	v_pk_mul_f16 v24, v25, v24
	v_pk_fma_f16 v25, v26, v20, v28
	v_pk_fma_f16 v20, v24, v20, v29
	v_mul_u32_u24_sdwa v24, v21, s46 dst_sel:DWORD dst_unused:UNUSED_PAD src0_sel:WORD_0 src1_sel:DWORD
	s_addc_u32 s28, s28, 0
	s_lshl_b64 s[12:13], s[40:41], 1
	s_waitcnt vmcnt(7)
	v_mul_u32_u24_e32 v26, 0x10001, v153
	s_waitcnt vmcnt(6)
	v_pk_lshrrev_b16 v27, 8, v154 op_sel:[1,0] op_sel_hi:[0,0]
	v_lshrrev_b32_e32 v28, 16, v27
	v_cvt_f16_i16_sdwa v27, sext(v27) dst_sel:DWORD dst_unused:UNUSED_PAD src0_sel:BYTE_0
	v_cvt_f16_i16_sdwa v28, sext(v28) dst_sel:DWORD dst_unused:UNUSED_PAD src0_sel:BYTE_0
	v_pack_b32_f16 v27, v27, v28
	v_pk_lshrrev_b16 v28, 8, v154 op_sel:[1,1] op_sel_hi:[0,1]
	v_lshrrev_b32_e32 v29, 16, v28
	v_pk_mul_f16 v27, v27, v26
	v_cvt_f16_i16_sdwa v28, sext(v28) dst_sel:DWORD dst_unused:UNUSED_PAD src0_sel:BYTE_0
	v_cvt_f16_i16_sdwa v29, sext(v29) dst_sel:DWORD dst_unused:UNUSED_PAD src0_sel:BYTE_0
	v_pack_b32_f16 v28, v28, v29
	v_pk_fma_f16 v23, v27, v24, v23
	v_pk_mul_f16 v26, v28, v26
	v_pk_fma_f16 v22, v26, v24, v22
	s_waitcnt vmcnt(4)
	v_pk_lshrrev_b16 v27, 8, v151 op_sel:[1,0] op_sel_hi:[0,0]
	v_lshrrev_b32_e32 v28, 16, v27
	v_cvt_f16_i16_sdwa v27, sext(v27) dst_sel:DWORD dst_unused:UNUSED_PAD src0_sel:BYTE_0
	v_cvt_f16_i16_sdwa v28, sext(v28) dst_sel:DWORD dst_unused:UNUSED_PAD src0_sel:BYTE_0
	v_pack_b32_f16 v27, v27, v28
	v_pk_lshrrev_b16 v28, 8, v151 op_sel:[1,1] op_sel_hi:[0,1]
	v_lshrrev_b32_e32 v29, 16, v28
	v_cvt_f16_i16_sdwa v28, sext(v28) dst_sel:DWORD dst_unused:UNUSED_PAD src0_sel:BYTE_0
	v_cvt_f16_i16_sdwa v29, sext(v29) dst_sel:DWORD dst_unused:UNUSED_PAD src0_sel:BYTE_0
	v_mul_u32_u24_e32 v26, 0x10001, v150
	v_pack_b32_f16 v28, v28, v29
	v_pk_mul_f16 v27, v27, v26
	v_pk_mul_f16 v26, v28, v26
	v_pk_fma_f16 v25, v27, v24, v25
	v_pk_fma_f16 v24, v26, v24, v20
	v_mul_u32_u24_sdwa v26, v21, s46 dst_sel:DWORD dst_unused:UNUSED_PAD src0_sel:WORD_1 src1_sel:DWORD
	s_waitcnt vmcnt(2)
	v_pk_lshrrev_b16 v21, 8, v145 op_sel:[1,0] op_sel_hi:[0,0]
	v_lshrrev_b32_e32 v27, 16, v21
	v_cvt_f16_i16_sdwa v21, sext(v21) dst_sel:DWORD dst_unused:UNUSED_PAD src0_sel:BYTE_0
	v_cvt_f16_i16_sdwa v27, sext(v27) dst_sel:DWORD dst_unused:UNUSED_PAD src0_sel:BYTE_0
	v_pack_b32_f16 v21, v21, v27
	v_pk_lshrrev_b16 v27, 8, v145 op_sel:[1,1] op_sel_hi:[0,1]
	v_lshrrev_b32_e32 v28, 16, v27
	v_cvt_f16_i16_sdwa v27, sext(v27) dst_sel:DWORD dst_unused:UNUSED_PAD src0_sel:BYTE_0
	v_cvt_f16_i16_sdwa v28, sext(v28) dst_sel:DWORD dst_unused:UNUSED_PAD src0_sel:BYTE_0
	v_mul_u32_u24_e32 v20, 0x10001, v143
	v_pack_b32_f16 v27, v27, v28
	v_pk_mul_f16 v21, v21, v20
	v_pk_mul_f16 v27, v27, v20
	v_pk_fma_f16 v20, v21, v26, v23
	v_pk_fma_f16 v21, v27, v26, v22
	s_waitcnt vmcnt(0)
	v_pk_lshrrev_b16 v22, 8, v19 op_sel:[1,0] op_sel_hi:[0,0]
	v_lshrrev_b32_e32 v23, 16, v22
	v_cvt_f16_i16_sdwa v22, sext(v22) dst_sel:DWORD dst_unused:UNUSED_PAD src0_sel:BYTE_0
	v_cvt_f16_i16_sdwa v23, sext(v23) dst_sel:DWORD dst_unused:UNUSED_PAD src0_sel:BYTE_0
	v_pk_lshrrev_b16 v19, 8, v19 op_sel:[1,1] op_sel_hi:[0,1]
	v_pack_b32_f16 v22, v22, v23
	v_lshrrev_b32_e32 v23, 16, v19
	v_cvt_f16_i16_sdwa v19, sext(v19) dst_sel:DWORD dst_unused:UNUSED_PAD src0_sel:BYTE_0
	v_cvt_f16_i16_sdwa v23, sext(v23) dst_sel:DWORD dst_unused:UNUSED_PAD src0_sel:BYTE_0
	v_mul_u32_u24_e32 v18, 0x10001, v18
	v_pack_b32_f16 v19, v19, v23
	s_add_u32 s16, s16, s12
	v_pk_mul_f16 v22, v22, v18
	v_pk_mul_f16 v18, v19, v18
	s_addc_u32 s17, s17, s13
	v_pk_fma_f16 v19, v22, v26, v25
	s_cmp_ge_i32 s22, s38
	v_pk_fma_f16 v18, v18, v26, v24
	s_cbranch_scc1 .LBB23_26
; %bb.24:                               ;   in Loop: Header=BB23_15 Depth=1
	v_mov_b32_e32 v22, v142
	s_branch .LBB23_15
.LBB23_25:
	v_mov_b32_e32 v20, 0
	v_mov_b32_e32 v142, 0xfeffffff
	;; [unrolled: 1-line block ×5, first 2 shown]
.LBB23_26:
	s_cmp_lg_u64 s[20:21], 0
	v_or_b32_e32 v2, s7, v1
	s_cselect_b64 s[2:3], -1, 0
	v_cmp_eq_u32_e32 vcc, 0, v2
	s_and_b64 s[8:9], vcc, s[2:3]
	s_and_saveexec_b64 s[2:3], s[8:9]
	s_cbranch_execz .LBB23_28
; %bb.27:
	s_lshl_b64 s[8:9], s[36:37], 2
	s_add_u32 s8, s20, s8
	s_addc_u32 s9, s21, s9
	s_load_dword s8, s[8:9], 0x0
	v_max_f32_e32 v2, v142, v142
	s_mov_b32 s9, 0x3fb8aa3b
	s_mov_b32 s10, 0x42b17218
	s_waitcnt lgkmcnt(0)
	v_max_f32_e64 v3, s8, s8
	v_max_f32_e32 v2, v2, v3
	v_sub_f32_e32 v3, s8, v2
	v_mul_f32_e32 v4, 0x3fb8aa3b, v3
	v_fma_f32 v5, v3, s9, -v4
	v_rndne_f32_e32 v6, v4
	v_fmac_f32_e32 v5, 0x32a5705f, v3
	v_sub_f32_e32 v4, v4, v6
	v_add_f32_e32 v4, v4, v5
	v_cvt_i32_f32_e32 v5, v6
	v_exp_f32_e32 v4, v4
	s_mov_b32 s8, 0xc2ce8ed0
	v_cmp_ngt_f32_e32 vcc, s8, v3
	v_ldexp_f32 v4, v4, v5
	v_sub_f32_e32 v5, v142, v2
	v_mul_f32_e32 v6, 0x3fb8aa3b, v5
	v_fma_f32 v7, v5, s9, -v6
	v_rndne_f32_e32 v8, v6
	v_fmac_f32_e32 v7, 0x32a5705f, v5
	v_sub_f32_e32 v6, v6, v8
	v_add_f32_e32 v6, v6, v7
	v_exp_f32_e32 v6, v6
	v_cvt_i32_f32_e32 v7, v8
	v_cndmask_b32_e32 v4, 0, v4, vcc
	v_mov_b32_e32 v8, 0x7f800000
	v_cmp_nlt_f32_e32 vcc, s10, v3
	v_cndmask_b32_e32 v3, v8, v4, vcc
	v_ldexp_f32 v4, v6, v7
	v_cmp_ngt_f32_e32 vcc, s8, v5
	v_cndmask_b32_e32 v4, 0, v4, vcc
	v_cmp_nlt_f32_e32 vcc, s10, v5
	v_cndmask_b32_e32 v4, v8, v4, vcc
	v_cvt_f16_f32_e32 v5, v4
	v_cmp_eq_u32_e32 vcc, 0, v0
	v_cndmask_b32_e32 v3, 0, v3, vcc
	v_fmac_f32_e32 v3, v55, v4
	v_mul_u32_u24_e32 v4, 0x10001, v5
	v_pk_mul_f16 v20, v20, v4
	v_pk_mul_f16 v21, v21, v4
	;; [unrolled: 1-line block ×4, first 2 shown]
	v_mov_b32_e32 v55, v3
	v_mov_b32_e32 v142, v2
.LBB23_28:
	s_or_b64 exec, exec, s[2:3]
	s_and_saveexec_b64 s[2:3], s[0:1]
; %bb.29:
	v_mov_b32_e32 v2, 0xfeffffff
	v_mov_b32_e32 v3, 0
	v_add_u32_e32 v4, 0x800, v54
	ds_write2_b32 v4, v2, v3 offset1:32
; %bb.30:
	s_or_b64 exec, exec, s[2:3]
	v_cmp_eq_u32_e32 vcc, 0, v0
	v_lshlrev_b32_e32 v8, 2, v1
	s_waitcnt lgkmcnt(0)
	s_barrier
	s_and_saveexec_b64 s[0:1], vcc
; %bb.31:
	ds_write_b32 v8, v142 offset:2048
; %bb.32:
	s_or_b64 exec, exec, s[0:1]
	v_mbcnt_hi_u32_b32 v2, -1, v50
	s_waitcnt lgkmcnt(0)
	s_barrier
	v_and_b32_e32 v3, 0x60, v2
	ds_read_b32 v5, v54 offset:2048
	v_add_u32_e32 v7, 32, v3
	v_xor_b32_e32 v3, 16, v2
	v_cmp_lt_i32_e64 s[0:1], v3, v7
	v_cndmask_b32_e64 v3, v2, v3, s[0:1]
	v_lshlrev_b32_e32 v3, 2, v3
	s_waitcnt lgkmcnt(0)
	ds_bpermute_b32 v6, v3, v5
	v_xor_b32_e32 v4, 8, v2
	v_cmp_lt_i32_e64 s[0:1], v4, v7
	v_cndmask_b32_e64 v4, v2, v4, s[0:1]
	v_max_f32_e32 v5, v5, v5
	s_waitcnt lgkmcnt(0)
	v_max_f32_e32 v6, v6, v6
	v_lshlrev_b32_e32 v4, 2, v4
	v_max_f32_e32 v6, v5, v6
	ds_bpermute_b32 v9, v4, v6
	v_xor_b32_e32 v5, 4, v2
	v_cmp_lt_i32_e64 s[0:1], v5, v7
	v_cndmask_b32_e64 v5, v2, v5, s[0:1]
	v_lshlrev_b32_e32 v5, 2, v5
	s_waitcnt lgkmcnt(0)
	v_max_f32_e32 v9, v9, v9
	v_max_f32_e32 v9, v6, v9
	ds_bpermute_b32 v10, v5, v9
	v_xor_b32_e32 v6, 2, v2
	v_cmp_lt_i32_e64 s[0:1], v6, v7
	v_cndmask_b32_e64 v6, v2, v6, s[0:1]
	v_lshlrev_b32_e32 v6, 2, v6
	s_waitcnt lgkmcnt(0)
	v_max_f32_e32 v10, v10, v10
	;; [unrolled: 8-line block ×3, first 2 shown]
	v_max_f32_e32 v2, v9, v2
	ds_bpermute_b32 v9, v7, v2
	s_mov_b32 s0, 0x3fb8aa3b
	v_lshlrev_b32_e32 v14, 3, v0
	s_load_dword s3, s[4:5], 0xd4
	v_lshl_add_u32 v1, v1, 9, v14
	s_waitcnt lgkmcnt(0)
	v_max_f32_e32 v9, v9, v9
	v_max_f32_e32 v2, v2, v9
	v_sub_f32_e32 v9, v142, v2
	v_mul_f32_e32 v10, 0x3fb8aa3b, v9
	v_fma_f32 v11, v9, s0, -v10
	v_rndne_f32_e32 v12, v10
	v_fmac_f32_e32 v11, 0x32a5705f, v9
	v_sub_f32_e32 v10, v10, v12
	v_add_f32_e32 v10, v10, v11
	v_exp_f32_e32 v10, v10
	v_cvt_i32_f32_e32 v11, v12
	s_mov_b32 s0, 0xc2ce8ed0
	v_cmp_ngt_f32_e64 s[0:1], s0, v9
	v_ldexp_f32 v10, v10, v11
	v_cndmask_b32_e64 v10, 0, v10, s[0:1]
	s_mov_b32 s0, 0x42b17218
	v_mov_b32_e32 v11, 0x7f800000
	v_cmp_nlt_f32_e64 s[0:1], s0, v9
	v_cndmask_b32_e64 v9, v11, v10, s[0:1]
	v_mul_f32_e32 v10, v55, v9
	ds_bpermute_b32 v10, v3, v10
	v_cvt_f16_f32_e32 v0, v9
	s_waitcnt lgkmcnt(0)
	v_fmac_f32_e32 v10, v55, v9
	ds_bpermute_b32 v11, v4, v10
	v_mul_u32_u24_e32 v13, 0x10001, v0
	s_waitcnt lgkmcnt(0)
	v_add_f32_e32 v10, v10, v11
	ds_bpermute_b32 v11, v5, v10
	s_waitcnt lgkmcnt(0)
	v_add_f32_e32 v9, v10, v11
	ds_bpermute_b32 v12, v6, v9
	v_pk_mul_f16 v10, v20, v13
	v_pk_mul_f16 v11, v21, v13
	s_waitcnt lgkmcnt(0)
	v_add_f32_e32 v0, v9, v12
	ds_bpermute_b32 v9, v7, v0
	v_pk_mul_f16 v12, v19, v13
	v_pk_mul_f16 v13, v18, v13
	ds_write2_b64 v1, v[10:11], v[12:13] offset1:32
	s_and_saveexec_b64 s[0:1], vcc
	s_cbranch_execz .LBB23_34
; %bb.33:
	s_waitcnt lgkmcnt(1)
	v_add_f32_e32 v0, v0, v9
	ds_write_b32 v8, v0 offset:2176
.LBB23_34:
	s_or_b64 exec, exec, s[0:1]
	s_waitcnt lgkmcnt(0)
	s_barrier
	ds_read_b32 v0, v54 offset:2176
	ds_read_u16 v1, v53
	ds_read_u16 v8, v53 offset:1280
	ds_read_u16 v9, v53 offset:768
	;; [unrolled: 1-line block ×3, first 2 shown]
	s_waitcnt lgkmcnt(4)
	ds_bpermute_b32 v3, v3, v0
	s_waitcnt lgkmcnt(4)
	v_cvt_f32_f16_e32 v1, v1
	s_waitcnt lgkmcnt(3)
	v_cvt_f32_f16_e32 v8, v8
	;; [unrolled: 2-line block ×3, first 2 shown]
	s_mul_i32 s2, s33, s34
	s_waitcnt lgkmcnt(0)
	v_add_f32_e32 v0, v0, v3
	ds_bpermute_b32 v3, v4, v0
	ds_read_u16 v4, v53 offset:512
	ds_read_u16 v11, v53 offset:1024
	;; [unrolled: 1-line block ×4, first 2 shown]
	v_add_f32_e32 v1, 0, v1
	s_waitcnt lgkmcnt(3)
	v_cvt_f32_f16_e32 v4, v4
	s_add_i32 s2, s2, s6
	v_add_f32_e32 v0, v0, v3
	ds_bpermute_b32 v3, v5, v0
	s_waitcnt lgkmcnt(3)
	v_cvt_f32_f16_e32 v5, v11
	s_waitcnt lgkmcnt(2)
	v_cvt_f32_f16_e32 v11, v12
	v_add_f32_e32 v1, v1, v4
	s_waitcnt lgkmcnt(0)
	v_add_f32_e32 v0, v0, v3
	ds_bpermute_b32 v3, v6, v0
	v_cvt_f32_f16_e32 v6, v10
	v_add_f32_e32 v1, v1, v5
	v_cvt_f32_f16_e32 v10, v13
	s_waitcnt lgkmcnt(0)
	v_add_f32_e32 v0, v0, v3
	ds_bpermute_b32 v3, v7, v0
	v_add_f32_e32 v7, v1, v11
	v_add_f32_e32 v1, 0, v6
	;; [unrolled: 1-line block ×4, first 2 shown]
	s_waitcnt lgkmcnt(0)
	v_add_f32_e32 v3, v0, v3
	v_div_scale_f32 v0, s[0:1], v3, v3, v7
	v_add_f32_e32 v6, v1, v10
	v_div_scale_f32 v4, s[0:1], v3, v3, v6
	v_div_scale_f32 v5, vcc, v7, v3, v7
	v_div_scale_f32 v8, s[0:1], v6, v3, v6
	v_mov_b32_e32 v1, 0
	v_mov_b32_e32 v10, s25
	v_rcp_f32_e32 v9, v0
	v_rcp_f32_e32 v11, v4
	v_fma_f32 v12, -v0, v9, 1.0
	v_fmac_f32_e32 v9, v12, v9
	v_mul_f32_e32 v12, v5, v9
	v_fma_f32 v13, -v0, v12, v5
	v_fmac_f32_e32 v12, v13, v9
	v_fma_f32 v0, -v0, v12, v5
	v_div_fmas_f32 v9, v0, v9, v12
	v_fma_f32 v0, -v4, v11, 1.0
	v_fmac_f32_e32 v11, v0, v11
	v_mul_f32_e32 v0, v8, v11
	v_fma_f32 v5, -v4, v0, v8
	v_fmac_f32_e32 v0, v5, v11
	v_fma_f32 v4, -v4, v0, v8
	s_mov_b64 vcc, s[0:1]
	v_div_fmas_f32 v8, v4, v11, v0
	s_mul_i32 s0, s2, s35
	s_add_i32 s0, s0, s36
	s_mul_i32 s0, s3, s0
	s_add_i32 s2, s0, s7
	v_lshl_or_b32 v0, s2, 8, v52
	v_lshlrev_b64 v[4:5], 2, v[0:1]
	s_cmp_eq_u32 s3, 1
	v_div_fixup_f32 v0, v9, v3, v7
	s_cselect_b64 vcc, -1, 0
	v_add_co_u32_e64 v4, s[0:1], s24, v4
	v_cndmask_b32_e32 v0, v7, v0, vcc
	v_addc_co_u32_e64 v5, s[0:1], v10, v5, s[0:1]
	global_store_dword v[4:5], v0, off
	v_div_fixup_f32 v0, v8, v3, v6
	s_cmp_lg_u32 s3, 1
	v_cndmask_b32_e32 v0, v6, v0, vcc
	s_cselect_b64 s[0:1], -1, 0
	v_cmp_eq_u32_e32 vcc, 0, v52
	s_and_b64 s[0:1], vcc, s[0:1]
	global_store_dword v[4:5], v0, off offset:512
	s_and_saveexec_b64 s[4:5], s[0:1]
	s_cbranch_execz .LBB23_36
; %bb.35:
	s_mov_b32 s3, 0
	s_lshl_b64 s[0:1], s[2:3], 3
	s_add_u32 s0, s26, s0
	s_addc_u32 s1, s27, s1
	global_store_dwordx2 v1, v[2:3], s[0:1]
.LBB23_36:
	s_endpgm
	.section	.rodata,"a",@progbits
	.p2align	6, 0x0
	.amdhsa_kernel _ZL18flash_attn_ext_vecILi256ELi1EL9ggml_type2ELS0_8ELb0EEvPKcS2_S2_S2_S2_PKiPfP15HIP_vector_typeIfLj2EEffffjfiS6_IjLj3EEiiiiiiiiiiiliiliiiiil
		.amdhsa_group_segment_fixed_size 2304
		.amdhsa_private_segment_fixed_size 0
		.amdhsa_kernarg_size 464
		.amdhsa_user_sgpr_count 6
		.amdhsa_user_sgpr_private_segment_buffer 1
		.amdhsa_user_sgpr_dispatch_ptr 0
		.amdhsa_user_sgpr_queue_ptr 0
		.amdhsa_user_sgpr_kernarg_segment_ptr 1
		.amdhsa_user_sgpr_dispatch_id 0
		.amdhsa_user_sgpr_flat_scratch_init 0
		.amdhsa_user_sgpr_private_segment_size 0
		.amdhsa_uses_dynamic_stack 0
		.amdhsa_system_sgpr_private_segment_wavefront_offset 0
		.amdhsa_system_sgpr_workgroup_id_x 1
		.amdhsa_system_sgpr_workgroup_id_y 1
		.amdhsa_system_sgpr_workgroup_id_z 1
		.amdhsa_system_sgpr_workgroup_info 0
		.amdhsa_system_vgpr_workitem_id 1
		.amdhsa_next_free_vgpr 169
		.amdhsa_next_free_sgpr 61
		.amdhsa_reserve_vcc 1
		.amdhsa_reserve_flat_scratch 0
		.amdhsa_float_round_mode_32 0
		.amdhsa_float_round_mode_16_64 0
		.amdhsa_float_denorm_mode_32 3
		.amdhsa_float_denorm_mode_16_64 3
		.amdhsa_dx10_clamp 1
		.amdhsa_ieee_mode 1
		.amdhsa_fp16_overflow 0
		.amdhsa_exception_fp_ieee_invalid_op 0
		.amdhsa_exception_fp_denorm_src 0
		.amdhsa_exception_fp_ieee_div_zero 0
		.amdhsa_exception_fp_ieee_overflow 0
		.amdhsa_exception_fp_ieee_underflow 0
		.amdhsa_exception_fp_ieee_inexact 0
		.amdhsa_exception_int_div_zero 0
	.end_amdhsa_kernel
	.section	.text._ZL18flash_attn_ext_vecILi256ELi1EL9ggml_type2ELS0_8ELb0EEvPKcS2_S2_S2_S2_PKiPfP15HIP_vector_typeIfLj2EEffffjfiS6_IjLj3EEiiiiiiiiiiiliiliiiiil,"axG",@progbits,_ZL18flash_attn_ext_vecILi256ELi1EL9ggml_type2ELS0_8ELb0EEvPKcS2_S2_S2_S2_PKiPfP15HIP_vector_typeIfLj2EEffffjfiS6_IjLj3EEiiiiiiiiiiiliiliiiiil,comdat
.Lfunc_end23:
	.size	_ZL18flash_attn_ext_vecILi256ELi1EL9ggml_type2ELS0_8ELb0EEvPKcS2_S2_S2_S2_PKiPfP15HIP_vector_typeIfLj2EEffffjfiS6_IjLj3EEiiiiiiiiiiiliiliiiiil, .Lfunc_end23-_ZL18flash_attn_ext_vecILi256ELi1EL9ggml_type2ELS0_8ELb0EEvPKcS2_S2_S2_S2_PKiPfP15HIP_vector_typeIfLj2EEffffjfiS6_IjLj3EEiiiiiiiiiiiliiliiiiil
                                        ; -- End function
	.set _ZL18flash_attn_ext_vecILi256ELi1EL9ggml_type2ELS0_8ELb0EEvPKcS2_S2_S2_S2_PKiPfP15HIP_vector_typeIfLj2EEffffjfiS6_IjLj3EEiiiiiiiiiiiliiliiiiil.num_vgpr, 169
	.set _ZL18flash_attn_ext_vecILi256ELi1EL9ggml_type2ELS0_8ELb0EEvPKcS2_S2_S2_S2_PKiPfP15HIP_vector_typeIfLj2EEffffjfiS6_IjLj3EEiiiiiiiiiiiliiliiiiil.num_agpr, 0
	.set _ZL18flash_attn_ext_vecILi256ELi1EL9ggml_type2ELS0_8ELb0EEvPKcS2_S2_S2_S2_PKiPfP15HIP_vector_typeIfLj2EEffffjfiS6_IjLj3EEiiiiiiiiiiiliiliiiiil.numbered_sgpr, 47
	.set _ZL18flash_attn_ext_vecILi256ELi1EL9ggml_type2ELS0_8ELb0EEvPKcS2_S2_S2_S2_PKiPfP15HIP_vector_typeIfLj2EEffffjfiS6_IjLj3EEiiiiiiiiiiiliiliiiiil.num_named_barrier, 0
	.set _ZL18flash_attn_ext_vecILi256ELi1EL9ggml_type2ELS0_8ELb0EEvPKcS2_S2_S2_S2_PKiPfP15HIP_vector_typeIfLj2EEffffjfiS6_IjLj3EEiiiiiiiiiiiliiliiiiil.private_seg_size, 0
	.set _ZL18flash_attn_ext_vecILi256ELi1EL9ggml_type2ELS0_8ELb0EEvPKcS2_S2_S2_S2_PKiPfP15HIP_vector_typeIfLj2EEffffjfiS6_IjLj3EEiiiiiiiiiiiliiliiiiil.uses_vcc, 1
	.set _ZL18flash_attn_ext_vecILi256ELi1EL9ggml_type2ELS0_8ELb0EEvPKcS2_S2_S2_S2_PKiPfP15HIP_vector_typeIfLj2EEffffjfiS6_IjLj3EEiiiiiiiiiiiliiliiiiil.uses_flat_scratch, 0
	.set _ZL18flash_attn_ext_vecILi256ELi1EL9ggml_type2ELS0_8ELb0EEvPKcS2_S2_S2_S2_PKiPfP15HIP_vector_typeIfLj2EEffffjfiS6_IjLj3EEiiiiiiiiiiiliiliiiiil.has_dyn_sized_stack, 0
	.set _ZL18flash_attn_ext_vecILi256ELi1EL9ggml_type2ELS0_8ELb0EEvPKcS2_S2_S2_S2_PKiPfP15HIP_vector_typeIfLj2EEffffjfiS6_IjLj3EEiiiiiiiiiiiliiliiiiil.has_recursion, 0
	.set _ZL18flash_attn_ext_vecILi256ELi1EL9ggml_type2ELS0_8ELb0EEvPKcS2_S2_S2_S2_PKiPfP15HIP_vector_typeIfLj2EEffffjfiS6_IjLj3EEiiiiiiiiiiiliiliiiiil.has_indirect_call, 0
	.section	.AMDGPU.csdata,"",@progbits
; Kernel info:
; codeLenInByte = 19928
; TotalNumSgprs: 51
; NumVgprs: 169
; ScratchSize: 0
; MemoryBound: 0
; FloatMode: 240
; IeeeMode: 1
; LDSByteSize: 2304 bytes/workgroup (compile time only)
; SGPRBlocks: 8
; VGPRBlocks: 42
; NumSGPRsForWavesPerEU: 65
; NumVGPRsForWavesPerEU: 169
; Occupancy: 1
; WaveLimiterHint : 0
; COMPUTE_PGM_RSRC2:SCRATCH_EN: 0
; COMPUTE_PGM_RSRC2:USER_SGPR: 6
; COMPUTE_PGM_RSRC2:TRAP_HANDLER: 0
; COMPUTE_PGM_RSRC2:TGID_X_EN: 1
; COMPUTE_PGM_RSRC2:TGID_Y_EN: 1
; COMPUTE_PGM_RSRC2:TGID_Z_EN: 1
; COMPUTE_PGM_RSRC2:TIDIG_COMP_CNT: 1
	.section	.text._ZL33flash_attn_stream_k_fixup_uniformILi256ELi1ELi1EEvPfPK15HIP_vector_typeIfLj2EEiiiiiiS1_IjLj3EES5_S5_,"axG",@progbits,_ZL33flash_attn_stream_k_fixup_uniformILi256ELi1ELi1EEvPfPK15HIP_vector_typeIfLj2EEiiiiiiS1_IjLj3EES5_S5_,comdat
	.globl	_ZL33flash_attn_stream_k_fixup_uniformILi256ELi1ELi1EEvPfPK15HIP_vector_typeIfLj2EEiiiiiiS1_IjLj3EES5_S5_ ; -- Begin function _ZL33flash_attn_stream_k_fixup_uniformILi256ELi1ELi1EEvPfPK15HIP_vector_typeIfLj2EEiiiiiiS1_IjLj3EES5_S5_
	.p2align	8
	.type	_ZL33flash_attn_stream_k_fixup_uniformILi256ELi1ELi1EEvPfPK15HIP_vector_typeIfLj2EEiiiiiiS1_IjLj3EES5_S5_,@function
_ZL33flash_attn_stream_k_fixup_uniformILi256ELi1ELi1EEvPfPK15HIP_vector_typeIfLj2EEiiiiiiS1_IjLj3EES5_S5_: ; @_ZL33flash_attn_stream_k_fixup_uniformILi256ELi1ELi1EEvPfPK15HIP_vector_typeIfLj2EEiiiiiiS1_IjLj3EES5_S5_
; %bb.0:
	s_load_dwordx8 s[12:19], s[4:5], 0x1c
	s_load_dwordx2 s[10:11], s[4:5], 0x10
	s_load_dwordx4 s[0:3], s[4:5], 0x3c
	s_waitcnt lgkmcnt(0)
	s_mul_hi_u32 s9, s15, s6
	s_add_i32 s9, s6, s9
	s_lshr_b32 s9, s9, s16
	s_mul_i32 s15, s9, s17
	s_sub_i32 s16, s6, s15
	s_mul_hi_u32 s15, s16, s18
	s_add_i32 s15, s16, s15
	s_lshr_b32 s15, s15, s19
	s_mul_i32 s0, s15, s0
	s_sub_i32 s0, s16, s0
	;; [unrolled: 5-line block ×3, first 2 shown]
	s_add_i32 s16, s16, s7
	s_cmp_lt_i32 s16, s10
	s_cselect_b64 s[0:1], -1, 0
	s_add_i32 s17, s17, s8
	s_cmp_lt_i32 s17, s13
	s_cselect_b64 s[2:3], -1, 0
	s_and_b64 s[0:1], s[0:1], s[2:3]
	s_andn2_b64 vcc, exec, s[0:1]
	s_cbranch_vccnz .LBB24_6
; %bb.1:
	s_mul_i32 s9, s9, s10
	s_load_dwordx4 s[0:3], s[4:5], 0x0
	s_mul_i32 s15, s15, s13
	s_add_i32 s4, s16, s9
	s_mul_i32 s4, s4, s11
	s_add_i32 s5, s17, s15
	s_add_i32 s5, s5, s4
	v_lshl_or_b32 v1, s5, 8, v0
	v_ashrrev_i32_e32 v2, 31, v1
	v_lshlrev_b64 v[1:2], 2, v[1:2]
	s_waitcnt lgkmcnt(0)
	v_mov_b32_e32 v3, s1
	v_add_co_u32_e32 v1, vcc, s0, v1
	v_addc_co_u32_e32 v2, vcc, v3, v2, vcc
	global_load_dword v8, v[1:2], off
	s_mul_i32 s4, s14, s6
	s_add_i32 s7, s7, s8
	s_add_i32 s6, s4, s14
	;; [unrolled: 1-line block ×3, first 2 shown]
	s_add_i32 s0, s8, -1
	s_ashr_i32 s1, s0, 31
	s_lshl_b64 s[0:1], s[0:1], 3
	s_add_u32 s0, s2, s0
	s_addc_u32 s1, s3, s1
	s_load_dword s9, s[0:1], 0x4
	s_add_i32 s5, s6, -2
	s_cmp_lt_i32 s5, s4
	s_cbranch_scc1 .LBB24_4
; %bb.2:
	s_lshl_b32 s10, s12, 2
	s_load_dword s0, s[0:1], 0x0
	s_ashr_i32 s11, s10, 31
	s_lshl_b64 s[10:11], s[10:11], 2
	s_add_u32 s5, s2, s10
	s_addc_u32 s10, s3, s11
	v_lshl_or_b32 v0, s8, 8, v0
	s_add_i32 s6, s6, -1
	s_add_i32 s7, s7, s12
	v_add_u32_e32 v3, 0xfffffe00, v0
	s_waitcnt lgkmcnt(0)
	v_mov_b32_e32 v7, s9
	v_mov_b32_e32 v6, s0
	v_mov_b32_e32 v0, s10
	s_mov_b32 s8, 0x3fb8aa3b
	s_mov_b32 s9, 0xc2ce8ed0
	s_mov_b32 s10, 0x42b17218
	v_mov_b32_e32 v5, 0x7f800000
	s_mov_b32 s11, 0xc1a00000
.LBB24_3:                               ; =>This Inner Loop Header: Depth=1
	v_ashrrev_i32_e32 v4, 31, v3
	v_lshlrev_b64 v[9:10], 2, v[3:4]
	s_add_i32 s6, s6, -1
	v_add_co_u32_e32 v9, vcc, s5, v9
	v_addc_co_u32_e32 v10, vcc, v0, v10, vcc
	global_load_dword v4, v[9:10], off
	s_add_i32 s0, s6, s7
	s_ashr_i32 s1, s0, 31
	s_lshl_b64 s[0:1], s[0:1], 3
	s_add_u32 s0, s2, s0
	s_addc_u32 s1, s3, s1
	s_load_dwordx2 s[12:13], s[0:1], 0x0
	s_waitcnt vmcnt(1)
	v_mov_b32_e32 v9, v8
	v_max_f32_e32 v8, v6, v6
	v_mov_b32_e32 v10, v7
	v_add_u32_e32 v3, 0xffffff00, v3
	s_waitcnt lgkmcnt(0)
	v_max_f32_e64 v7, s12, s12
	v_max_f32_e32 v7, v8, v7
	v_sub_f32_e32 v11, s12, v7
	v_sub_f32_e32 v8, v6, v7
	v_mul_f32_e32 v12, 0x3fb8aa3b, v11
	v_mov_b32_e32 v6, v7
	v_mul_f32_e32 v7, 0x3fb8aa3b, v8
	v_fma_f32 v15, v11, s8, -v12
	v_rndne_f32_e32 v16, v12
	v_fma_f32 v13, v8, s8, -v7
	v_rndne_f32_e32 v14, v7
	v_fmac_f32_e32 v15, 0x32a5705f, v11
	v_sub_f32_e32 v12, v12, v16
	v_fmac_f32_e32 v13, 0x32a5705f, v8
	v_sub_f32_e32 v7, v7, v14
	v_add_f32_e32 v12, v12, v15
	v_cvt_i32_f32_e32 v16, v16
	v_add_f32_e32 v7, v7, v13
	v_exp_f32_e32 v12, v12
	v_cvt_i32_f32_e32 v14, v14
	v_exp_f32_e32 v7, v7
	v_cmp_ngt_f32_e32 vcc, s9, v11
	v_ldexp_f32 v12, v12, v16
	v_cmp_ngt_f32_e64 s[0:1], s9, v8
	v_ldexp_f32 v7, v7, v14
	v_cndmask_b32_e32 v12, 0, v12, vcc
	v_cmp_nlt_f32_e32 vcc, s10, v11
	v_cndmask_b32_e64 v7, 0, v7, s[0:1]
	v_cmp_nlt_f32_e64 s[0:1], s10, v8
	v_cndmask_b32_e32 v12, v5, v12, vcc
	v_cmp_le_f32_e32 vcc, s11, v11
	v_cndmask_b32_e64 v7, v5, v7, s[0:1]
	v_cmp_le_f32_e64 s[0:1], s11, v8
	v_cndmask_b32_e32 v8, 0, v12, vcc
	v_cndmask_b32_e64 v11, 0, v7, s[0:1]
	v_mul_f32_e32 v7, s13, v8
	s_cmp_le_i32 s6, s4
	v_fmac_f32_e32 v7, v10, v11
	s_waitcnt vmcnt(0)
	v_mul_f32_e32 v8, v4, v8
	v_fmac_f32_e32 v8, v9, v11
	s_cbranch_scc0 .LBB24_3
	s_branch .LBB24_5
.LBB24_4:
	s_waitcnt lgkmcnt(0)
	v_mov_b32_e32 v7, s9
.LBB24_5:
	s_waitcnt vmcnt(0)
	v_div_scale_f32 v0, s[0:1], v7, v7, v8
	v_div_scale_f32 v3, vcc, v8, v7, v8
	v_rcp_f32_e32 v4, v0
	v_fma_f32 v5, -v0, v4, 1.0
	v_fmac_f32_e32 v4, v5, v4
	v_mul_f32_e32 v5, v3, v4
	v_fma_f32 v6, -v0, v5, v3
	v_fmac_f32_e32 v5, v6, v4
	v_fma_f32 v0, -v0, v5, v3
	v_div_fmas_f32 v0, v0, v4, v5
	v_div_fixup_f32 v0, v0, v7, v8
	global_store_dword v[1:2], v0, off
.LBB24_6:
	s_endpgm
	.section	.rodata,"a",@progbits
	.p2align	6, 0x0
	.amdhsa_kernel _ZL33flash_attn_stream_k_fixup_uniformILi256ELi1ELi1EEvPfPK15HIP_vector_typeIfLj2EEiiiiiiS1_IjLj3EES5_S5_
		.amdhsa_group_segment_fixed_size 0
		.amdhsa_private_segment_fixed_size 0
		.amdhsa_kernarg_size 76
		.amdhsa_user_sgpr_count 6
		.amdhsa_user_sgpr_private_segment_buffer 1
		.amdhsa_user_sgpr_dispatch_ptr 0
		.amdhsa_user_sgpr_queue_ptr 0
		.amdhsa_user_sgpr_kernarg_segment_ptr 1
		.amdhsa_user_sgpr_dispatch_id 0
		.amdhsa_user_sgpr_flat_scratch_init 0
		.amdhsa_user_sgpr_private_segment_size 0
		.amdhsa_uses_dynamic_stack 0
		.amdhsa_system_sgpr_private_segment_wavefront_offset 0
		.amdhsa_system_sgpr_workgroup_id_x 1
		.amdhsa_system_sgpr_workgroup_id_y 1
		.amdhsa_system_sgpr_workgroup_id_z 1
		.amdhsa_system_sgpr_workgroup_info 0
		.amdhsa_system_vgpr_workitem_id 0
		.amdhsa_next_free_vgpr 17
		.amdhsa_next_free_sgpr 20
		.amdhsa_reserve_vcc 1
		.amdhsa_reserve_flat_scratch 0
		.amdhsa_float_round_mode_32 0
		.amdhsa_float_round_mode_16_64 0
		.amdhsa_float_denorm_mode_32 3
		.amdhsa_float_denorm_mode_16_64 3
		.amdhsa_dx10_clamp 1
		.amdhsa_ieee_mode 1
		.amdhsa_fp16_overflow 0
		.amdhsa_exception_fp_ieee_invalid_op 0
		.amdhsa_exception_fp_denorm_src 0
		.amdhsa_exception_fp_ieee_div_zero 0
		.amdhsa_exception_fp_ieee_overflow 0
		.amdhsa_exception_fp_ieee_underflow 0
		.amdhsa_exception_fp_ieee_inexact 0
		.amdhsa_exception_int_div_zero 0
	.end_amdhsa_kernel
	.section	.text._ZL33flash_attn_stream_k_fixup_uniformILi256ELi1ELi1EEvPfPK15HIP_vector_typeIfLj2EEiiiiiiS1_IjLj3EES5_S5_,"axG",@progbits,_ZL33flash_attn_stream_k_fixup_uniformILi256ELi1ELi1EEvPfPK15HIP_vector_typeIfLj2EEiiiiiiS1_IjLj3EES5_S5_,comdat
.Lfunc_end24:
	.size	_ZL33flash_attn_stream_k_fixup_uniformILi256ELi1ELi1EEvPfPK15HIP_vector_typeIfLj2EEiiiiiiS1_IjLj3EES5_S5_, .Lfunc_end24-_ZL33flash_attn_stream_k_fixup_uniformILi256ELi1ELi1EEvPfPK15HIP_vector_typeIfLj2EEiiiiiiS1_IjLj3EES5_S5_
                                        ; -- End function
	.set _ZL33flash_attn_stream_k_fixup_uniformILi256ELi1ELi1EEvPfPK15HIP_vector_typeIfLj2EEiiiiiiS1_IjLj3EES5_S5_.num_vgpr, 17
	.set _ZL33flash_attn_stream_k_fixup_uniformILi256ELi1ELi1EEvPfPK15HIP_vector_typeIfLj2EEiiiiiiS1_IjLj3EES5_S5_.num_agpr, 0
	.set _ZL33flash_attn_stream_k_fixup_uniformILi256ELi1ELi1EEvPfPK15HIP_vector_typeIfLj2EEiiiiiiS1_IjLj3EES5_S5_.numbered_sgpr, 20
	.set _ZL33flash_attn_stream_k_fixup_uniformILi256ELi1ELi1EEvPfPK15HIP_vector_typeIfLj2EEiiiiiiS1_IjLj3EES5_S5_.num_named_barrier, 0
	.set _ZL33flash_attn_stream_k_fixup_uniformILi256ELi1ELi1EEvPfPK15HIP_vector_typeIfLj2EEiiiiiiS1_IjLj3EES5_S5_.private_seg_size, 0
	.set _ZL33flash_attn_stream_k_fixup_uniformILi256ELi1ELi1EEvPfPK15HIP_vector_typeIfLj2EEiiiiiiS1_IjLj3EES5_S5_.uses_vcc, 1
	.set _ZL33flash_attn_stream_k_fixup_uniformILi256ELi1ELi1EEvPfPK15HIP_vector_typeIfLj2EEiiiiiiS1_IjLj3EES5_S5_.uses_flat_scratch, 0
	.set _ZL33flash_attn_stream_k_fixup_uniformILi256ELi1ELi1EEvPfPK15HIP_vector_typeIfLj2EEiiiiiiS1_IjLj3EES5_S5_.has_dyn_sized_stack, 0
	.set _ZL33flash_attn_stream_k_fixup_uniformILi256ELi1ELi1EEvPfPK15HIP_vector_typeIfLj2EEiiiiiiS1_IjLj3EES5_S5_.has_recursion, 0
	.set _ZL33flash_attn_stream_k_fixup_uniformILi256ELi1ELi1EEvPfPK15HIP_vector_typeIfLj2EEiiiiiiS1_IjLj3EES5_S5_.has_indirect_call, 0
	.section	.AMDGPU.csdata,"",@progbits
; Kernel info:
; codeLenInByte = 780
; TotalNumSgprs: 24
; NumVgprs: 17
; ScratchSize: 0
; MemoryBound: 0
; FloatMode: 240
; IeeeMode: 1
; LDSByteSize: 0 bytes/workgroup (compile time only)
; SGPRBlocks: 2
; VGPRBlocks: 4
; NumSGPRsForWavesPerEU: 24
; NumVGPRsForWavesPerEU: 17
; Occupancy: 10
; WaveLimiterHint : 0
; COMPUTE_PGM_RSRC2:SCRATCH_EN: 0
; COMPUTE_PGM_RSRC2:USER_SGPR: 6
; COMPUTE_PGM_RSRC2:TRAP_HANDLER: 0
; COMPUTE_PGM_RSRC2:TGID_X_EN: 1
; COMPUTE_PGM_RSRC2:TGID_Y_EN: 1
; COMPUTE_PGM_RSRC2:TGID_Z_EN: 1
; COMPUTE_PGM_RSRC2:TIDIG_COMP_CNT: 0
	.section	.text._ZL33flash_attn_stream_k_fixup_generalILi256ELi1ELi1EEvPfPK15HIP_vector_typeIfLj2EEiiiiS1_IjLj3EES5_S5_S5_,"axG",@progbits,_ZL33flash_attn_stream_k_fixup_generalILi256ELi1ELi1EEvPfPK15HIP_vector_typeIfLj2EEiiiiS1_IjLj3EES5_S5_S5_,comdat
	.globl	_ZL33flash_attn_stream_k_fixup_generalILi256ELi1ELi1EEvPfPK15HIP_vector_typeIfLj2EEiiiiS1_IjLj3EES5_S5_S5_ ; -- Begin function _ZL33flash_attn_stream_k_fixup_generalILi256ELi1ELi1EEvPfPK15HIP_vector_typeIfLj2EEiiiiS1_IjLj3EES5_S5_S5_
	.p2align	8
	.type	_ZL33flash_attn_stream_k_fixup_generalILi256ELi1ELi1EEvPfPK15HIP_vector_typeIfLj2EEiiiiS1_IjLj3EES5_S5_S5_,@function
_ZL33flash_attn_stream_k_fixup_generalILi256ELi1ELi1EEvPfPK15HIP_vector_typeIfLj2EEiiiiS1_IjLj3EES5_S5_S5_: ; @_ZL33flash_attn_stream_k_fixup_generalILi256ELi1ELi1EEvPfPK15HIP_vector_typeIfLj2EEiiiiS1_IjLj3EES5_S5_S5_
; %bb.0:
	s_load_dwordx4 s[0:3], s[4:5], 0x10
	s_load_dword s22, s[4:5], 0x50
	s_mov_b32 s12, 0
	s_waitcnt lgkmcnt(0)
	s_mul_hi_i32 s13, s3, s6
	s_cmp_lg_u64 s[12:13], 0
	s_mul_i32 s9, s3, s6
	s_cbranch_scc0 .LBB25_20
; %bb.1:
	s_add_u32 s10, s22, 0
	s_addc_u32 s11, 0, 0
	s_xor_b64 s[10:11], s[10:11], 0
	v_cvt_f32_u32_e32 v1, s10
	v_cvt_f32_u32_e32 v2, s11
	s_sub_u32 s12, 0, s10
	s_subb_u32 s18, 0, s11
	v_madmk_f32 v1, v2, 0x4f800000, v1
	v_rcp_f32_e32 v1, v1
	v_mul_f32_e32 v1, 0x5f7ffffc, v1
	v_mul_f32_e32 v2, 0x2f800000, v1
	v_trunc_f32_e32 v2, v2
	v_madmk_f32 v1, v2, 0xcf800000, v1
	v_cvt_u32_f32_e32 v2, v2
	v_cvt_u32_f32_e32 v1, v1
	v_readfirstlane_b32 s19, v2
	v_readfirstlane_b32 s14, v1
	s_mul_i32 s15, s12, s19
	s_mul_hi_u32 s21, s12, s14
	s_mul_i32 s20, s18, s14
	s_add_i32 s15, s21, s15
	s_add_i32 s15, s15, s20
	s_mul_i32 s23, s12, s14
	s_mul_i32 s21, s14, s15
	s_mul_hi_u32 s24, s14, s23
	s_mul_hi_u32 s20, s14, s15
	s_add_u32 s21, s24, s21
	s_addc_u32 s20, 0, s20
	s_mul_hi_u32 s25, s19, s23
	s_mul_i32 s23, s19, s23
	s_add_u32 s21, s21, s23
	s_mul_hi_u32 s24, s19, s15
	s_addc_u32 s20, s20, s25
	s_addc_u32 s21, s24, 0
	s_mul_i32 s15, s19, s15
	s_add_u32 s15, s20, s15
	s_addc_u32 s20, 0, s21
	s_add_u32 s21, s14, s15
	s_cselect_b64 s[14:15], -1, 0
	s_cmp_lg_u64 s[14:15], 0
	s_addc_u32 s19, s19, s20
	s_mul_i32 s14, s12, s19
	s_mul_hi_u32 s15, s12, s21
	s_add_i32 s14, s15, s14
	s_mul_i32 s18, s18, s21
	s_add_i32 s14, s14, s18
	s_mul_i32 s12, s12, s21
	s_mul_hi_u32 s18, s19, s12
	s_mul_i32 s20, s19, s12
	s_mul_i32 s24, s21, s14
	s_mul_hi_u32 s12, s21, s12
	s_mul_hi_u32 s23, s21, s14
	s_add_u32 s12, s12, s24
	s_addc_u32 s23, 0, s23
	s_add_u32 s12, s12, s20
	s_mul_hi_u32 s15, s19, s14
	s_addc_u32 s12, s23, s18
	s_addc_u32 s15, s15, 0
	s_mul_i32 s14, s19, s14
	s_add_u32 s12, s12, s14
	s_addc_u32 s18, 0, s15
	s_add_u32 s20, s21, s12
	s_cselect_b64 s[14:15], -1, 0
	s_cmp_lg_u64 s[14:15], 0
	s_addc_u32 s18, s19, s18
	s_ashr_i32 s14, s13, 31
	s_add_u32 s12, s9, s14
	s_mov_b32 s15, s14
	s_addc_u32 s13, s13, s14
	s_xor_b64 s[12:13], s[12:13], s[14:15]
	s_mul_i32 s21, s12, s18
	s_mul_hi_u32 s23, s12, s20
	s_mul_hi_u32 s19, s12, s18
	s_add_u32 s21, s23, s21
	s_addc_u32 s19, 0, s19
	s_mul_hi_u32 s24, s13, s20
	s_mul_i32 s20, s13, s20
	s_add_u32 s20, s21, s20
	s_mul_hi_u32 s23, s13, s18
	s_addc_u32 s19, s19, s24
	s_addc_u32 s20, s23, 0
	s_mul_i32 s18, s13, s18
	s_add_u32 s23, s19, s18
	s_addc_u32 s24, 0, s20
	s_mul_i32 s18, s10, s24
	s_mul_hi_u32 s19, s10, s23
	s_add_i32 s18, s19, s18
	s_mul_i32 s19, s11, s23
	s_add_i32 s25, s18, s19
	s_sub_i32 s20, s13, s25
	s_mul_i32 s18, s10, s23
	s_sub_u32 s12, s12, s18
	s_cselect_b64 s[18:19], -1, 0
	s_cmp_lg_u64 s[18:19], 0
	s_subb_u32 s26, s20, s11
	s_sub_u32 s27, s12, s10
	s_cselect_b64 s[20:21], -1, 0
	s_cmp_lg_u64 s[20:21], 0
	s_subb_u32 s20, s26, 0
	s_cmp_ge_u32 s20, s11
	s_cselect_b32 s21, -1, 0
	s_cmp_ge_u32 s27, s10
	s_cselect_b32 s26, -1, 0
	s_cmp_eq_u32 s20, s11
	s_cselect_b32 s20, s26, s21
	s_add_u32 s21, s23, 1
	s_addc_u32 s26, s24, 0
	s_add_u32 s27, s23, 2
	s_addc_u32 s28, s24, 0
	s_cmp_lg_u32 s20, 0
	s_cselect_b32 s20, s27, s21
	s_cselect_b32 s21, s28, s26
	s_cmp_lg_u64 s[18:19], 0
	s_subb_u32 s13, s13, s25
	s_cmp_ge_u32 s13, s11
	s_cselect_b32 s18, -1, 0
	s_cmp_ge_u32 s12, s10
	s_cselect_b32 s10, -1, 0
	s_cmp_eq_u32 s13, s11
	s_cselect_b32 s10, s10, s18
	s_cmp_lg_u32 s10, 0
	s_cselect_b32 s11, s21, s24
	s_cselect_b32 s10, s20, s23
	s_xor_b64 s[12:13], s[14:15], 0
	s_xor_b64 s[10:11], s[10:11], s[12:13]
	s_sub_u32 s10, s10, s12
	s_load_dwordx4 s[12:15], s[4:5], 0x44
	s_cbranch_execnz .LBB25_3
.LBB25_2:
	v_cvt_f32_u32_e32 v1, s22
	s_sub_i32 s10, 0, s22
	v_rcp_iflag_f32_e32 v1, v1
	v_mul_f32_e32 v1, 0x4f7ffffe, v1
	v_cvt_u32_f32_e32 v1, v1
	v_readfirstlane_b32 s11, v1
	s_mul_i32 s10, s10, s11
	s_mul_hi_u32 s10, s11, s10
	s_add_i32 s11, s11, s10
	s_mul_hi_u32 s10, s9, s11
	s_waitcnt lgkmcnt(0)
	s_mul_i32 s15, s10, s22
	s_sub_i32 s9, s9, s15
	s_add_i32 s11, s10, 1
	s_sub_i32 s15, s9, s22
	s_cmp_ge_u32 s9, s22
	s_cselect_b32 s10, s11, s10
	s_cselect_b32 s9, s15, s9
	s_add_i32 s11, s10, 1
	s_cmp_ge_u32 s9, s22
	s_cselect_b32 s10, s11, s10
.LBB25_3:
	s_add_i32 s9, s6, 1
	s_mul_hi_i32 s21, s3, s9
	s_mov_b32 s20, 0
	s_cmp_lg_u64 s[20:21], 0
	s_mul_i32 s9, s3, s9
	s_cbranch_scc0 .LBB25_21
; %bb.4:
	s_add_u32 s16, s22, 0
	s_addc_u32 s17, 0, 0
	s_xor_b64 s[18:19], s[16:17], 0
	v_cvt_f32_u32_e32 v1, s18
	v_cvt_f32_u32_e32 v2, s19
	s_sub_u32 s11, 0, s18
	s_waitcnt lgkmcnt(0)
	s_subb_u32 s15, 0, s19
	v_madmk_f32 v1, v2, 0x4f800000, v1
	v_rcp_f32_e32 v1, v1
	v_mul_f32_e32 v1, 0x5f7ffffc, v1
	v_mul_f32_e32 v2, 0x2f800000, v1
	v_trunc_f32_e32 v2, v2
	v_madmk_f32 v1, v2, 0xcf800000, v1
	v_cvt_u32_f32_e32 v2, v2
	v_cvt_u32_f32_e32 v1, v1
	v_readfirstlane_b32 s20, v2
	v_readfirstlane_b32 s23, v1
	s_mul_i32 s24, s11, s20
	s_mul_hi_u32 s26, s11, s23
	s_mul_i32 s25, s15, s23
	s_add_i32 s24, s26, s24
	s_add_i32 s24, s24, s25
	s_mul_i32 s27, s11, s23
	s_mul_i32 s26, s23, s24
	s_mul_hi_u32 s28, s23, s27
	s_mul_hi_u32 s25, s23, s24
	s_add_u32 s26, s28, s26
	s_addc_u32 s25, 0, s25
	s_mul_hi_u32 s29, s20, s27
	s_mul_i32 s27, s20, s27
	s_add_u32 s26, s26, s27
	s_mul_hi_u32 s28, s20, s24
	s_addc_u32 s25, s25, s29
	s_addc_u32 s26, s28, 0
	s_mul_i32 s24, s20, s24
	s_add_u32 s24, s25, s24
	s_addc_u32 s26, 0, s26
	s_add_u32 s23, s23, s24
	s_cselect_b64 s[24:25], -1, 0
	s_cmp_lg_u64 s[24:25], 0
	s_addc_u32 s20, s20, s26
	s_mul_i32 s24, s11, s20
	s_mul_hi_u32 s25, s11, s23
	s_add_i32 s24, s25, s24
	s_mul_i32 s15, s15, s23
	s_add_i32 s24, s24, s15
	s_mul_i32 s11, s11, s23
	s_mul_hi_u32 s25, s20, s11
	s_mul_i32 s26, s20, s11
	s_mul_i32 s28, s23, s24
	s_mul_hi_u32 s11, s23, s11
	s_mul_hi_u32 s27, s23, s24
	s_add_u32 s11, s11, s28
	s_addc_u32 s27, 0, s27
	s_add_u32 s11, s11, s26
	s_mul_hi_u32 s15, s20, s24
	s_addc_u32 s11, s27, s25
	s_addc_u32 s15, s15, 0
	s_mul_i32 s24, s20, s24
	s_add_u32 s11, s11, s24
	s_addc_u32 s15, 0, s15
	s_add_u32 s11, s23, s11
	s_cselect_b64 s[24:25], -1, 0
	s_cmp_lg_u64 s[24:25], 0
	s_addc_u32 s15, s20, s15
	s_ashr_i32 s24, s21, 31
	s_add_u32 s20, s9, s24
	s_mov_b32 s25, s24
	s_addc_u32 s21, s21, s24
	s_xor_b64 s[20:21], s[20:21], s[24:25]
	s_mul_i32 s26, s20, s15
	s_mul_hi_u32 s27, s20, s11
	s_mul_hi_u32 s23, s20, s15
	s_add_u32 s26, s27, s26
	s_addc_u32 s23, 0, s23
	s_mul_hi_u32 s28, s21, s11
	s_mul_i32 s11, s21, s11
	s_add_u32 s11, s26, s11
	s_mul_hi_u32 s27, s21, s15
	s_addc_u32 s11, s23, s28
	s_addc_u32 s23, s27, 0
	s_mul_i32 s15, s21, s15
	s_add_u32 s11, s11, s15
	s_addc_u32 s15, 0, s23
	s_mul_i32 s23, s18, s15
	s_mul_hi_u32 s26, s18, s11
	s_add_i32 s23, s26, s23
	s_mul_i32 s26, s19, s11
	s_add_i32 s23, s23, s26
	s_sub_i32 s28, s21, s23
	s_mul_i32 s26, s18, s11
	s_sub_u32 s20, s20, s26
	s_cselect_b64 s[26:27], -1, 0
	s_cmp_lg_u64 s[26:27], 0
	s_subb_u32 s30, s28, s19
	s_sub_u32 s31, s20, s18
	s_cselect_b64 s[28:29], -1, 0
	s_cmp_lg_u64 s[28:29], 0
	s_subb_u32 s28, s30, 0
	s_cmp_ge_u32 s28, s19
	s_cselect_b32 s29, -1, 0
	s_cmp_ge_u32 s31, s18
	s_cselect_b32 s30, -1, 0
	s_cmp_eq_u32 s28, s19
	s_cselect_b32 s28, s30, s29
	s_add_u32 s29, s11, 1
	s_addc_u32 s30, s15, 0
	s_add_u32 s31, s11, 2
	s_addc_u32 s33, s15, 0
	s_cmp_lg_u32 s28, 0
	s_cselect_b32 s28, s31, s29
	s_cselect_b32 s29, s33, s30
	s_cmp_lg_u64 s[26:27], 0
	s_subb_u32 s21, s21, s23
	s_cmp_ge_u32 s21, s19
	s_cselect_b32 s23, -1, 0
	s_cmp_ge_u32 s20, s18
	s_cselect_b32 s18, -1, 0
	s_cmp_eq_u32 s21, s19
	s_cselect_b32 s18, s18, s23
	s_cmp_lg_u32 s18, 0
	s_cselect_b32 s19, s29, s15
	s_cselect_b32 s18, s28, s11
	s_xor_b64 s[20:21], s[24:25], 0
	s_xor_b64 s[18:19], s[18:19], s[20:21]
	s_sub_u32 s18, s18, s20
	s_cbranch_execnz .LBB25_6
.LBB25_5:
	v_cvt_f32_u32_e32 v1, s22
	s_sub_i32 s11, 0, s22
	v_rcp_iflag_f32_e32 v1, v1
	v_mul_f32_e32 v1, 0x4f7ffffe, v1
	v_cvt_u32_f32_e32 v1, v1
	s_waitcnt lgkmcnt(0)
	v_readfirstlane_b32 s15, v1
	s_mul_i32 s11, s11, s15
	s_mul_hi_u32 s11, s15, s11
	s_add_i32 s15, s15, s11
	s_mul_hi_u32 s11, s9, s15
	s_mul_i32 s16, s11, s22
	s_sub_i32 s9, s9, s16
	s_add_i32 s15, s11, 1
	s_sub_i32 s16, s9, s22
	s_cmp_ge_u32 s9, s22
	s_cselect_b32 s11, s15, s11
	s_cselect_b32 s9, s16, s9
	s_add_i32 s15, s11, 1
	s_cmp_ge_u32 s9, s22
	s_cselect_b32 s18, s15, s11
.LBB25_6:
	s_cmp_eq_u32 s10, s18
	s_waitcnt lgkmcnt(0)
	s_mul_hi_u32 s9, s10, s12
	s_cselect_b64 s[16:17], -1, 0
	s_add_i32 s9, s9, s10
	s_lshr_b32 s11, s9, s13
	s_mul_i32 s9, s11, s14
	s_cmp_eq_u32 s9, s10
	s_mul_hi_u32 s9, s18, s12
	s_cselect_b64 s[20:21], -1, 0
	s_add_i32 s9, s9, s18
	s_lshr_b32 s9, s9, s13
	s_cmp_eq_u32 s11, s9
	s_mul_i32 s9, s9, s14
	s_cselect_b64 s[24:25], -1, 0
	s_cmp_lg_u32 s9, s18
	s_cselect_b64 s[18:19], -1, 0
	s_and_b64 s[18:19], s[24:25], s[18:19]
	s_or_b64 s[16:17], s[16:17], s[20:21]
	s_or_b64 s[16:17], s[16:17], s[18:19]
	s_and_b64 vcc, exec, s[16:17]
	s_cbranch_vccnz .LBB25_23
; %bb.7:
	s_load_dwordx8 s[24:31], s[4:5], 0x20
	s_load_dword s15, s[4:5], 0x40
	s_waitcnt lgkmcnt(0)
	s_mul_hi_u32 s9, s10, s24
	s_add_i32 s9, s9, s10
	s_lshr_b32 s9, s9, s25
	s_mul_i32 s16, s9, s26
	s_sub_i32 s16, s10, s16
	s_mul_hi_u32 s17, s16, s27
	s_add_i32 s17, s16, s17
	s_lshr_b32 s23, s17, s28
	s_mul_i32 s17, s23, s29
	s_sub_i32 s16, s16, s17
	s_mul_hi_u32 s17, s16, s30
	s_add_i32 s17, s16, s17
	s_lshr_b32 s25, s17, s31
	s_mul_i32 s15, s25, s15
	s_sub_i32 s15, s16, s15
	s_mul_hi_u32 s16, s15, s12
	s_add_i32 s15, s15, s16
	s_lshr_b32 s24, s15, s13
	s_add_i32 s24, s24, s7
	s_cmp_lt_i32 s24, s0
	s_cselect_b64 s[16:17], -1, 0
	s_add_i32 s25, s25, s8
	s_cmp_lt_i32 s25, s2
	s_cselect_b64 s[18:19], -1, 0
	s_and_b64 s[16:17], s[16:17], s[18:19]
	s_andn2_b64 vcc, exec, s[16:17]
	s_cbranch_vccnz .LBB25_23
; %bb.8:
	s_load_dwordx4 s[16:19], s[4:5], 0x0
	s_mov_b32 s4, 0
	s_lshl_b32 s20, s22, 2
	s_mov_b32 s21, s4
	s_add_i32 s15, s7, s8
	s_lshl_b64 s[20:21], s[20:21], 2
	s_waitcnt lgkmcnt(0)
	s_add_u32 s20, s18, s20
	s_mul_i32 s9, s9, s0
	s_addc_u32 s21, s19, s21
	s_mul_i32 s23, s23, s2
	s_add_i32 s0, s24, s9
	s_mul_i32 s0, s0, s1
	s_add_i32 s1, s25, s23
	s_add_i32 s1, s1, s0
	v_lshl_or_b32 v1, s1, 8, v0
	v_ashrrev_i32_e32 v2, 31, v1
	v_lshlrev_b64 v[1:2], 2, v[1:2]
	v_mov_b32_e32 v3, s17
	v_add_co_u32_e32 v1, vcc, s16, v1
	v_addc_co_u32_e32 v2, vcc, v3, v2, vcc
	global_load_dword v3, v[1:2], off
	v_cvt_f32_u32_e32 v4, s22
	s_add_i32 s0, s15, s6
	s_ashr_i32 s1, s0, 31
	s_lshl_b64 s[0:1], s[0:1], 3
	v_rcp_iflag_f32_e32 v4, v4
	s_add_u32 s0, s18, s0
	s_addc_u32 s1, s19, s1
	s_load_dwordx2 s[0:1], s[0:1], 0x0
	v_mul_f32_e32 v4, 0x4f7ffffe, v4
	v_cvt_u32_f32_e32 v4, v4
	s_add_i32 s24, s6, -1
	s_mov_b32 s2, 0x3fb8aa3b
	s_waitcnt lgkmcnt(0)
	v_mov_b32_e32 v6, s1
	v_mov_b32_e32 v7, s0
	s_mov_b32 s16, 0xc2ce8ed0
	s_mov_b32 s17, 0x42b17218
	;; [unrolled: 1-line block ×3, first 2 shown]
	v_mov_b32_e32 v5, 0x7f800000
	s_mul_hi_i32 s5, s24, s3
	s_cmp_lg_u64 s[4:5], 0
	s_mul_i32 s8, s24, s3
	s_cbranch_scc0 .LBB25_19
.LBB25_9:
	s_add_u32 s0, s22, 0
	s_addc_u32 s1, 0, 0
	s_xor_b64 s[0:1], s[0:1], 0
	v_cvt_f32_u32_e32 v8, s0
	v_cvt_f32_u32_e32 v9, s1
	s_sub_u32 s9, 0, s0
	s_subb_u32 s25, 0, s1
	v_mac_f32_e32 v8, 0x4f800000, v9
	v_rcp_f32_e32 v8, v8
	v_mul_f32_e32 v8, 0x5f7ffffc, v8
	v_mul_f32_e32 v9, 0x2f800000, v8
	v_trunc_f32_e32 v9, v9
	v_mac_f32_e32 v8, 0xcf800000, v9
	v_cvt_u32_f32_e32 v9, v9
	v_cvt_u32_f32_e32 v8, v8
	v_readfirstlane_b32 s26, v9
	v_readfirstlane_b32 s6, v8
	s_mul_i32 s7, s9, s26
	s_mul_hi_u32 s28, s9, s6
	s_mul_i32 s27, s25, s6
	s_add_i32 s7, s28, s7
	s_mul_i32 s29, s9, s6
	s_add_i32 s7, s7, s27
	s_mul_i32 s28, s6, s7
	s_mul_hi_u32 s30, s6, s29
	s_mul_hi_u32 s27, s6, s7
	s_add_u32 s28, s30, s28
	s_addc_u32 s27, 0, s27
	s_mul_hi_u32 s31, s26, s29
	s_mul_i32 s29, s26, s29
	s_add_u32 s28, s28, s29
	s_mul_hi_u32 s30, s26, s7
	s_addc_u32 s27, s27, s31
	s_addc_u32 s28, s30, 0
	s_mul_i32 s7, s26, s7
	s_add_u32 s7, s27, s7
	s_addc_u32 s27, 0, s28
	s_add_u32 s28, s6, s7
	s_cselect_b64 s[6:7], -1, 0
	s_cmp_lg_u64 s[6:7], 0
	s_addc_u32 s26, s26, s27
	s_mul_i32 s6, s9, s26
	s_mul_hi_u32 s7, s9, s28
	s_add_i32 s6, s7, s6
	s_mul_i32 s25, s25, s28
	s_add_i32 s6, s6, s25
	s_mul_i32 s9, s9, s28
	s_mul_hi_u32 s25, s26, s9
	s_mul_i32 s27, s26, s9
	s_mul_i32 s30, s28, s6
	s_mul_hi_u32 s9, s28, s9
	s_mul_hi_u32 s29, s28, s6
	s_add_u32 s9, s9, s30
	s_addc_u32 s29, 0, s29
	s_add_u32 s9, s9, s27
	s_mul_hi_u32 s7, s26, s6
	s_addc_u32 s9, s29, s25
	s_addc_u32 s7, s7, 0
	s_mul_i32 s6, s26, s6
	s_add_u32 s6, s9, s6
	s_addc_u32 s9, 0, s7
	s_add_u32 s25, s28, s6
	s_cselect_b64 s[6:7], -1, 0
	s_cmp_lg_u64 s[6:7], 0
	s_addc_u32 s9, s26, s9
	s_ashr_i32 s6, s5, 31
	s_add_u32 s26, s8, s6
	s_mov_b32 s7, s6
	s_addc_u32 s27, s5, s6
	s_xor_b64 s[26:27], s[26:27], s[6:7]
	s_mul_i32 s28, s26, s9
	s_mul_hi_u32 s29, s26, s25
	s_mul_hi_u32 s5, s26, s9
	s_add_u32 s28, s29, s28
	s_addc_u32 s5, 0, s5
	s_mul_hi_u32 s30, s27, s25
	s_mul_i32 s25, s27, s25
	s_add_u32 s25, s28, s25
	s_mul_hi_u32 s29, s27, s9
	s_addc_u32 s5, s5, s30
	s_addc_u32 s25, s29, 0
	s_mul_i32 s9, s27, s9
	s_add_u32 s5, s5, s9
	s_addc_u32 s9, 0, s25
	s_mul_i32 s25, s0, s9
	s_mul_hi_u32 s28, s0, s5
	s_add_i32 s25, s28, s25
	s_mul_i32 s28, s1, s5
	s_add_i32 s25, s25, s28
	s_sub_i32 s30, s27, s25
	s_mul_i32 s28, s0, s5
	s_sub_u32 s26, s26, s28
	s_cselect_b64 s[28:29], -1, 0
	s_cmp_lg_u64 s[28:29], 0
	s_subb_u32 s33, s30, s1
	s_sub_u32 s34, s26, s0
	s_cselect_b64 s[30:31], -1, 0
	s_cmp_lg_u64 s[30:31], 0
	s_subb_u32 s30, s33, 0
	s_cmp_ge_u32 s30, s1
	s_cselect_b32 s31, -1, 0
	s_cmp_ge_u32 s34, s0
	s_cselect_b32 s33, -1, 0
	s_cmp_eq_u32 s30, s1
	s_cselect_b32 s30, s33, s31
	s_add_u32 s31, s5, 1
	s_addc_u32 s33, s9, 0
	s_add_u32 s34, s5, 2
	s_addc_u32 s35, s9, 0
	s_cmp_lg_u32 s30, 0
	s_cselect_b32 s30, s34, s31
	s_cselect_b32 s31, s35, s33
	s_cmp_lg_u64 s[28:29], 0
	s_subb_u32 s25, s27, s25
	s_cmp_ge_u32 s25, s1
	s_cselect_b32 s27, -1, 0
	s_cmp_ge_u32 s26, s0
	s_cselect_b32 s0, -1, 0
	s_cmp_eq_u32 s25, s1
	s_cselect_b32 s0, s0, s27
	s_cmp_lg_u32 s0, 0
	s_cselect_b32 s1, s31, s9
	s_cselect_b32 s0, s30, s5
	s_xor_b64 s[6:7], s[6:7], 0
	s_xor_b64 s[0:1], s[0:1], s[6:7]
	s_sub_u32 s6, s0, s6
	s_cbranch_execnz .LBB25_11
.LBB25_10:
	s_sub_i32 s0, 0, s22
	v_readfirstlane_b32 s1, v4
	s_mul_i32 s0, s0, s1
	s_mul_hi_u32 s0, s1, s0
	s_add_i32 s1, s1, s0
	s_mul_hi_u32 s0, s8, s1
	s_mul_i32 s5, s0, s22
	s_sub_i32 s5, s8, s5
	s_add_i32 s1, s0, 1
	s_sub_i32 s6, s5, s22
	s_cmp_ge_u32 s5, s22
	s_cselect_b32 s0, s1, s0
	s_cselect_b32 s5, s6, s5
	s_add_i32 s1, s0, 1
	s_cmp_ge_u32 s5, s22
	s_cselect_b32 s6, s1, s0
.LBB25_11:
	s_cmp_lg_u32 s10, s6
	s_mov_b64 s[8:9], -1
                                        ; implicit-def: $sgpr0_sgpr1
                                        ; implicit-def: $vgpr10
                                        ; implicit-def: $vgpr8
                                        ; implicit-def: $vgpr9
                                        ; implicit-def: $sgpr5
                                        ; implicit-def: $sgpr7
	s_cbranch_scc1 .LBB25_14
; %bb.12:
	s_andn2_b64 vcc, exec, s[8:9]
	s_cbranch_vccz .LBB25_17
.LBB25_13:
	s_andn2_b64 vcc, exec, s[0:1]
	s_cbranch_vccnz .LBB25_18
	s_branch .LBB25_22
.LBB25_14:
	s_add_i32 s25, s24, s15
	s_add_i32 s0, s25, s22
	s_mov_b32 s1, s4
	s_lshl_b64 s[0:1], s[0:1], 3
	s_add_u32 s8, s18, s0
	s_mul_hi_u32 s0, s6, s12
	s_addc_u32 s9, s19, s1
	s_add_i32 s0, s0, s6
	s_lshr_b32 s5, s0, s13
	s_mul_i32 s0, s5, s14
	s_cmp_eq_u32 s0, s6
	s_cselect_b64 s[0:1], -1, 0
	s_cmp_lt_u32 s5, s11
	s_cselect_b64 s[26:27], -1, 0
	s_or_b64 s[26:27], s[26:27], s[0:1]
	s_mov_b64 s[0:1], -1
	s_and_b64 vcc, exec, s[26:27]
	s_mov_b32 s5, s24
	s_mov_b32 s7, s10
	s_cbranch_vccnz .LBB25_16
; %bb.15:
	s_add_i32 s5, s24, -1
	s_mov_b64 s[0:1], 0
	s_mov_b32 s7, s6
.LBB25_16:
	v_lshl_or_b32 v8, s25, 8, v0
	v_ashrrev_i32_e32 v9, 31, v8
	v_lshlrev_b64 v[8:9], 2, v[8:9]
	v_mov_b32_e32 v10, s21
	v_add_co_u32_e32 v8, vcc, s20, v8
	v_addc_co_u32_e32 v9, vcc, v10, v9, vcc
	global_load_dword v10, v[8:9], off
	s_load_dwordx2 s[8:9], s[8:9], 0x0
	v_max_f32_e32 v8, v7, v7
	s_waitcnt lgkmcnt(0)
	v_max_f32_e64 v9, s8, s8
	v_max_f32_e32 v8, v8, v9
	v_sub_f32_e32 v9, v7, v8
	v_sub_f32_e32 v11, s8, v8
	v_mul_f32_e32 v12, 0x3fb8aa3b, v9
	v_mul_f32_e32 v13, 0x3fb8aa3b, v11
	v_fma_f32 v14, v9, s2, -v12
	v_rndne_f32_e32 v15, v12
	v_fma_f32 v16, v11, s2, -v13
	v_rndne_f32_e32 v17, v13
	v_fmac_f32_e32 v14, 0x32a5705f, v9
	v_sub_f32_e32 v12, v12, v15
	v_fmac_f32_e32 v16, 0x32a5705f, v11
	v_sub_f32_e32 v13, v13, v17
	v_add_f32_e32 v12, v12, v14
	v_cvt_i32_f32_e32 v15, v15
	v_add_f32_e32 v13, v13, v16
	v_exp_f32_e32 v12, v12
	v_cvt_i32_f32_e32 v17, v17
	v_exp_f32_e32 v13, v13
	v_cmp_ngt_f32_e32 vcc, s16, v9
	v_ldexp_f32 v12, v12, v15
	v_cndmask_b32_e32 v12, 0, v12, vcc
	v_ldexp_f32 v13, v13, v17
	v_cmp_ngt_f32_e32 vcc, s16, v11
	v_cndmask_b32_e32 v13, 0, v13, vcc
	v_cmp_nlt_f32_e32 vcc, s17, v9
	v_cndmask_b32_e32 v12, v5, v12, vcc
	v_cmp_nlt_f32_e32 vcc, s17, v11
	v_cndmask_b32_e32 v13, v5, v13, vcc
	v_cmp_le_f32_e32 vcc, s23, v9
	v_cndmask_b32_e32 v12, 0, v12, vcc
	v_cmp_le_f32_e32 vcc, s23, v11
	v_cndmask_b32_e32 v11, 0, v13, vcc
	v_mul_f32_e32 v9, s9, v11
	v_fmac_f32_e32 v9, v6, v12
	s_waitcnt vmcnt(0)
	v_mul_f32_e32 v10, v10, v11
	v_fmac_f32_e32 v10, v3, v12
	s_cbranch_execnz .LBB25_13
.LBB25_17:
	s_add_i32 s5, s24, -1
	s_mov_b32 s7, s10
	v_mov_b32_e32 v9, v6
	v_mov_b32_e32 v8, v7
	s_waitcnt vmcnt(0)
	v_mov_b32_e32 v10, v3
	s_cbranch_execz .LBB25_22
.LBB25_18:
	s_mov_b32 s10, s7
	s_mov_b32 s24, s5
	v_mov_b32_e32 v6, v9
	v_mov_b32_e32 v7, v8
	s_waitcnt vmcnt(0)
	v_mov_b32_e32 v3, v10
	s_mul_hi_i32 s5, s24, s3
	s_cmp_lg_u64 s[4:5], 0
	s_mul_i32 s8, s24, s3
	s_cbranch_scc1 .LBB25_9
.LBB25_19:
                                        ; implicit-def: $sgpr6_sgpr7
	s_branch .LBB25_10
.LBB25_20:
                                        ; implicit-def: $sgpr10_sgpr11
	s_load_dwordx4 s[12:15], s[4:5], 0x44
	s_branch .LBB25_2
.LBB25_21:
                                        ; implicit-def: $sgpr18_sgpr19
	s_branch .LBB25_5
.LBB25_22:
	v_div_scale_f32 v0, s[0:1], v9, v9, v10
	s_waitcnt vmcnt(0)
	v_div_scale_f32 v3, vcc, v10, v9, v10
	v_rcp_f32_e32 v4, v0
	v_fma_f32 v5, -v0, v4, 1.0
	v_fmac_f32_e32 v4, v5, v4
	v_mul_f32_e32 v5, v3, v4
	v_fma_f32 v6, -v0, v5, v3
	v_fmac_f32_e32 v5, v6, v4
	v_fma_f32 v0, -v0, v5, v3
	v_div_fmas_f32 v0, v0, v4, v5
	v_div_fixup_f32 v0, v0, v9, v10
	global_store_dword v[1:2], v0, off
.LBB25_23:
	s_endpgm
	.section	.rodata,"a",@progbits
	.p2align	6, 0x0
	.amdhsa_kernel _ZL33flash_attn_stream_k_fixup_generalILi256ELi1ELi1EEvPfPK15HIP_vector_typeIfLj2EEiiiiS1_IjLj3EES5_S5_S5_
		.amdhsa_group_segment_fixed_size 0
		.amdhsa_private_segment_fixed_size 0
		.amdhsa_kernarg_size 336
		.amdhsa_user_sgpr_count 6
		.amdhsa_user_sgpr_private_segment_buffer 1
		.amdhsa_user_sgpr_dispatch_ptr 0
		.amdhsa_user_sgpr_queue_ptr 0
		.amdhsa_user_sgpr_kernarg_segment_ptr 1
		.amdhsa_user_sgpr_dispatch_id 0
		.amdhsa_user_sgpr_flat_scratch_init 0
		.amdhsa_user_sgpr_private_segment_size 0
		.amdhsa_uses_dynamic_stack 0
		.amdhsa_system_sgpr_private_segment_wavefront_offset 0
		.amdhsa_system_sgpr_workgroup_id_x 1
		.amdhsa_system_sgpr_workgroup_id_y 1
		.amdhsa_system_sgpr_workgroup_id_z 1
		.amdhsa_system_sgpr_workgroup_info 0
		.amdhsa_system_vgpr_workitem_id 0
		.amdhsa_next_free_vgpr 18
		.amdhsa_next_free_sgpr 36
		.amdhsa_reserve_vcc 1
		.amdhsa_reserve_flat_scratch 0
		.amdhsa_float_round_mode_32 0
		.amdhsa_float_round_mode_16_64 0
		.amdhsa_float_denorm_mode_32 3
		.amdhsa_float_denorm_mode_16_64 3
		.amdhsa_dx10_clamp 1
		.amdhsa_ieee_mode 1
		.amdhsa_fp16_overflow 0
		.amdhsa_exception_fp_ieee_invalid_op 0
		.amdhsa_exception_fp_denorm_src 0
		.amdhsa_exception_fp_ieee_div_zero 0
		.amdhsa_exception_fp_ieee_overflow 0
		.amdhsa_exception_fp_ieee_underflow 0
		.amdhsa_exception_fp_ieee_inexact 0
		.amdhsa_exception_int_div_zero 0
	.end_amdhsa_kernel
	.section	.text._ZL33flash_attn_stream_k_fixup_generalILi256ELi1ELi1EEvPfPK15HIP_vector_typeIfLj2EEiiiiS1_IjLj3EES5_S5_S5_,"axG",@progbits,_ZL33flash_attn_stream_k_fixup_generalILi256ELi1ELi1EEvPfPK15HIP_vector_typeIfLj2EEiiiiS1_IjLj3EES5_S5_S5_,comdat
.Lfunc_end25:
	.size	_ZL33flash_attn_stream_k_fixup_generalILi256ELi1ELi1EEvPfPK15HIP_vector_typeIfLj2EEiiiiS1_IjLj3EES5_S5_S5_, .Lfunc_end25-_ZL33flash_attn_stream_k_fixup_generalILi256ELi1ELi1EEvPfPK15HIP_vector_typeIfLj2EEiiiiS1_IjLj3EES5_S5_S5_
                                        ; -- End function
	.set _ZL33flash_attn_stream_k_fixup_generalILi256ELi1ELi1EEvPfPK15HIP_vector_typeIfLj2EEiiiiS1_IjLj3EES5_S5_S5_.num_vgpr, 18
	.set _ZL33flash_attn_stream_k_fixup_generalILi256ELi1ELi1EEvPfPK15HIP_vector_typeIfLj2EEiiiiS1_IjLj3EES5_S5_S5_.num_agpr, 0
	.set _ZL33flash_attn_stream_k_fixup_generalILi256ELi1ELi1EEvPfPK15HIP_vector_typeIfLj2EEiiiiS1_IjLj3EES5_S5_S5_.numbered_sgpr, 36
	.set _ZL33flash_attn_stream_k_fixup_generalILi256ELi1ELi1EEvPfPK15HIP_vector_typeIfLj2EEiiiiS1_IjLj3EES5_S5_S5_.num_named_barrier, 0
	.set _ZL33flash_attn_stream_k_fixup_generalILi256ELi1ELi1EEvPfPK15HIP_vector_typeIfLj2EEiiiiS1_IjLj3EES5_S5_S5_.private_seg_size, 0
	.set _ZL33flash_attn_stream_k_fixup_generalILi256ELi1ELi1EEvPfPK15HIP_vector_typeIfLj2EEiiiiS1_IjLj3EES5_S5_S5_.uses_vcc, 1
	.set _ZL33flash_attn_stream_k_fixup_generalILi256ELi1ELi1EEvPfPK15HIP_vector_typeIfLj2EEiiiiS1_IjLj3EES5_S5_S5_.uses_flat_scratch, 0
	.set _ZL33flash_attn_stream_k_fixup_generalILi256ELi1ELi1EEvPfPK15HIP_vector_typeIfLj2EEiiiiS1_IjLj3EES5_S5_S5_.has_dyn_sized_stack, 0
	.set _ZL33flash_attn_stream_k_fixup_generalILi256ELi1ELi1EEvPfPK15HIP_vector_typeIfLj2EEiiiiS1_IjLj3EES5_S5_S5_.has_recursion, 0
	.set _ZL33flash_attn_stream_k_fixup_generalILi256ELi1ELi1EEvPfPK15HIP_vector_typeIfLj2EEiiiiS1_IjLj3EES5_S5_S5_.has_indirect_call, 0
	.section	.AMDGPU.csdata,"",@progbits
; Kernel info:
; codeLenInByte = 2896
; TotalNumSgprs: 40
; NumVgprs: 18
; ScratchSize: 0
; MemoryBound: 0
; FloatMode: 240
; IeeeMode: 1
; LDSByteSize: 0 bytes/workgroup (compile time only)
; SGPRBlocks: 4
; VGPRBlocks: 4
; NumSGPRsForWavesPerEU: 40
; NumVGPRsForWavesPerEU: 18
; Occupancy: 10
; WaveLimiterHint : 0
; COMPUTE_PGM_RSRC2:SCRATCH_EN: 0
; COMPUTE_PGM_RSRC2:USER_SGPR: 6
; COMPUTE_PGM_RSRC2:TRAP_HANDLER: 0
; COMPUTE_PGM_RSRC2:TGID_X_EN: 1
; COMPUTE_PGM_RSRC2:TGID_Y_EN: 1
; COMPUTE_PGM_RSRC2:TGID_Z_EN: 1
; COMPUTE_PGM_RSRC2:TIDIG_COMP_CNT: 0
	.section	.text._ZL26flash_attn_combine_resultsILi256EEvPKfPK15HIP_vector_typeIfLj2EEPfi,"axG",@progbits,_ZL26flash_attn_combine_resultsILi256EEvPKfPK15HIP_vector_typeIfLj2EEPfi,comdat
	.globl	_ZL26flash_attn_combine_resultsILi256EEvPKfPK15HIP_vector_typeIfLj2EEPfi ; -- Begin function _ZL26flash_attn_combine_resultsILi256EEvPKfPK15HIP_vector_typeIfLj2EEPfi
	.p2align	8
	.type	_ZL26flash_attn_combine_resultsILi256EEvPKfPK15HIP_vector_typeIfLj2EEPfi,@function
_ZL26flash_attn_combine_resultsILi256EEvPKfPK15HIP_vector_typeIfLj2EEPfi: ; @_ZL26flash_attn_combine_resultsILi256EEvPKfPK15HIP_vector_typeIfLj2EEPfi
; %bb.0:
	s_load_dwordx2 s[12:13], s[4:5], 0x20
	s_load_dword s9, s[4:5], 0x18
	s_load_dwordx4 s[0:3], s[4:5], 0x0
	s_load_dwordx2 s[10:11], s[4:5], 0x10
	v_lshlrev_b32_e32 v4, 2, v0
	s_waitcnt lgkmcnt(0)
	s_mul_i32 s4, s12, s8
	s_add_i32 s4, s4, s6
	s_mul_i32 s8, s4, s13
	s_add_i32 s8, s8, s7
	s_lshl_b32 s12, s9, 1
	s_mul_i32 s4, s8, s9
	v_cmp_gt_i32_e32 vcc, s12, v0
	s_and_saveexec_b64 s[6:7], vcc
	s_cbranch_execz .LBB26_3
; %bb.1:
	s_ashr_i32 s5, s4, 31
	s_lshl_b64 s[14:15], s[4:5], 3
	s_add_u32 s2, s2, s14
	s_addc_u32 s3, s3, s15
	v_mov_b32_e32 v2, s3
	v_add_co_u32_e32 v1, vcc, s2, v4
	v_addc_co_u32_e32 v2, vcc, 0, v2, vcc
	v_add_u32_e32 v3, 0, v4
	s_mov_b64 s[2:3], 0
	v_mov_b32_e32 v5, v0
.LBB26_2:                               ; =>This Inner Loop Header: Depth=1
	global_load_dword v6, v[1:2], off
	v_add_co_u32_e32 v1, vcc, 0x400, v1
	v_add_u32_e32 v5, 0x100, v5
	v_addc_co_u32_e32 v2, vcc, 0, v2, vcc
	v_cmp_le_i32_e32 vcc, s12, v5
	s_or_b64 s[2:3], vcc, s[2:3]
	s_waitcnt vmcnt(0)
	ds_write_b32 v3, v6
	v_add_u32_e32 v3, 0x400, v3
	s_andn2_b64 exec, exec, s[2:3]
	s_cbranch_execnz .LBB26_2
.LBB26_3:
	s_or_b64 exec, exec, s[6:7]
	v_mov_b32_e32 v1, 0
	s_waitcnt lgkmcnt(0)
	s_barrier
	ds_read_b32 v5, v1
	s_cmp_lt_i32 s9, 2
	s_cbranch_scc1 .LBB26_11
; %bb.4:
	s_add_i32 s2, s9, -1
	s_add_i32 s3, s9, -2
	s_cmp_lt_u32 s3, 7
	s_cbranch_scc1 .LBB26_8
; %bb.5:
	s_mov_b32 s6, 0
	s_add_i32 s3, 0, 8
	s_and_b32 s5, s2, -8
.LBB26_6:                               ; =>This Inner Loop Header: Depth=1
	v_mov_b32_e32 v3, s3
	ds_read2_b32 v[1:2], v3 offset1:2
	ds_read2_b32 v[6:7], v3 offset0:4 offset1:6
	ds_read2_b32 v[8:9], v3 offset0:8 offset1:10
	ds_read2_b32 v[10:11], v3 offset0:12 offset1:14
	s_mov_b32 s7, s6
	s_waitcnt lgkmcnt(3)
	v_max3_f32 v1, v5, v1, v2
	s_waitcnt lgkmcnt(2)
	v_max3_f32 v1, v1, v6, v7
	s_add_i32 s3, s3, 64
	s_add_i32 s6, s6, 8
	s_waitcnt lgkmcnt(1)
	v_max3_f32 v1, v1, v8, v9
	s_cmp_eq_u32 s5, s6
	s_waitcnt lgkmcnt(0)
	v_max3_f32 v5, v1, v10, v11
	s_cbranch_scc0 .LBB26_6
; %bb.7:
	s_add_i32 s3, s7, 9
	s_and_b32 s2, s2, 7
	s_cmp_eq_u32 s2, 0
	s_cbranch_scc0 .LBB26_9
	s_branch .LBB26_11
.LBB26_8:
	s_mov_b32 s3, 1
	s_and_b32 s2, s2, 7
	s_cmp_eq_u32 s2, 0
	s_cbranch_scc1 .LBB26_11
.LBB26_9:
	s_lshl_b32 s3, s3, 3
	s_add_i32 s3, s3, 0
.LBB26_10:                              ; =>This Inner Loop Header: Depth=1
	v_mov_b32_e32 v1, s3
	ds_read_b32 v1, v1
	s_waitcnt lgkmcnt(1)
	v_max_f32_e32 v2, v5, v5
	s_add_i32 s3, s3, 8
	s_add_i32 s2, s2, -1
	s_cmp_lg_u32 s2, 0
	s_waitcnt lgkmcnt(0)
	v_max_f32_e32 v1, v1, v1
	v_max_f32_e32 v5, v2, v1
	s_cbranch_scc1 .LBB26_10
.LBB26_11:
	s_cmp_lt_i32 s9, 1
	s_cbranch_scc1 .LBB26_16
; %bb.12:
	s_lshl_b32 s2, s4, 8
	s_ashr_i32 s3, s2, 31
	s_lshl_b64 s[2:3], s[2:3], 2
	s_add_u32 s0, s0, s2
	s_addc_u32 s1, s1, s3
	s_cmp_lt_u32 s9, 8
	s_cbranch_scc1 .LBB26_17
; %bb.13:
	s_and_b32 s2, s9, 0x7ffffff8
	v_or_b32_e32 v1, 0x700, v0
	s_mov_b32 s3, 0
	v_mov_b32_e32 v3, 0
	v_mov_b32_e32 v6, 0
	s_mov_b32 s4, 0x3fb8aa3b
	s_mov_b32 s5, 0xc2ce8ed0
	;; [unrolled: 1-line block ×3, first 2 shown]
	v_mov_b32_e32 v8, 0x7f800000
	v_mov_b32_e32 v9, s1
	s_mov_b32 s7, 0
	v_mov_b32_e32 v7, 0
.LBB26_14:                              ; =>This Inner Loop Header: Depth=1
	v_mov_b32_e32 v16, s3
	ds_read2_b64 v[10:13], v16 offset1:1
	s_add_i32 s7, s7, 8
	s_add_i32 s3, s3, 64
	s_cmp_eq_u32 s2, s7
	s_waitcnt lgkmcnt(0)
	v_sub_f32_e32 v2, v10, v5
	v_mul_f32_e32 v10, 0x3fb8aa3b, v2
	v_fma_f32 v14, v2, s4, -v10
	v_rndne_f32_e32 v15, v10
	v_fmac_f32_e32 v14, 0x32a5705f, v2
	v_sub_f32_e32 v10, v10, v15
	v_add_f32_e32 v10, v10, v14
	v_exp_f32_e32 v10, v10
	v_cvt_i32_f32_e32 v14, v15
	v_cmp_ngt_f32_e32 vcc, s5, v2
	v_ldexp_f32 v10, v10, v14
	v_cndmask_b32_e32 v10, 0, v10, vcc
	v_cmp_nlt_f32_e32 vcc, s6, v2
	v_add_u32_e32 v2, 0xfffff900, v1
	v_lshlrev_b64 v[14:15], 2, v[2:3]
	v_cndmask_b32_e32 v10, v8, v10, vcc
	v_add_co_u32_e32 v14, vcc, s0, v14
	v_addc_co_u32_e32 v15, vcc, v9, v15, vcc
	global_load_dword v2, v[14:15], off
	v_fmac_f32_e32 v7, v10, v11
	s_waitcnt vmcnt(0)
	v_fmac_f32_e32 v6, v2, v10
	v_sub_f32_e32 v2, v12, v5
	v_mul_f32_e32 v10, 0x3fb8aa3b, v2
	v_fma_f32 v11, v2, s4, -v10
	v_rndne_f32_e32 v12, v10
	v_fmac_f32_e32 v11, 0x32a5705f, v2
	v_sub_f32_e32 v10, v10, v12
	v_add_f32_e32 v10, v10, v11
	v_exp_f32_e32 v10, v10
	v_cvt_i32_f32_e32 v11, v12
	v_cmp_ngt_f32_e32 vcc, s5, v2
	v_ldexp_f32 v10, v10, v11
	v_cndmask_b32_e32 v10, 0, v10, vcc
	v_cmp_nlt_f32_e32 vcc, s6, v2
	v_add_u32_e32 v2, 0xfffffa00, v1
	v_cndmask_b32_e32 v12, v8, v10, vcc
	v_lshlrev_b64 v[10:11], 2, v[2:3]
	v_fmac_f32_e32 v7, v12, v13
	v_add_co_u32_e32 v10, vcc, s0, v10
	v_addc_co_u32_e32 v11, vcc, v9, v11, vcc
	global_load_dword v2, v[10:11], off
	s_waitcnt vmcnt(0)
	v_fmac_f32_e32 v6, v2, v12
	ds_read2_b64 v[10:13], v16 offset0:2 offset1:3
	s_waitcnt lgkmcnt(0)
	v_sub_f32_e32 v2, v10, v5
	v_mul_f32_e32 v10, 0x3fb8aa3b, v2
	v_fma_f32 v14, v2, s4, -v10
	v_rndne_f32_e32 v15, v10
	v_fmac_f32_e32 v14, 0x32a5705f, v2
	v_sub_f32_e32 v10, v10, v15
	v_add_f32_e32 v10, v10, v14
	v_exp_f32_e32 v10, v10
	v_cvt_i32_f32_e32 v14, v15
	v_cmp_ngt_f32_e32 vcc, s5, v2
	v_ldexp_f32 v10, v10, v14
	v_cndmask_b32_e32 v10, 0, v10, vcc
	v_cmp_nlt_f32_e32 vcc, s6, v2
	v_add_u32_e32 v2, 0xfffffb00, v1
	v_lshlrev_b64 v[14:15], 2, v[2:3]
	v_cndmask_b32_e32 v10, v8, v10, vcc
	v_add_co_u32_e32 v14, vcc, s0, v14
	v_addc_co_u32_e32 v15, vcc, v9, v15, vcc
	global_load_dword v2, v[14:15], off
	v_fmac_f32_e32 v7, v10, v11
	s_waitcnt vmcnt(0)
	v_fmac_f32_e32 v6, v2, v10
	v_sub_f32_e32 v2, v12, v5
	v_mul_f32_e32 v10, 0x3fb8aa3b, v2
	v_fma_f32 v11, v2, s4, -v10
	v_rndne_f32_e32 v12, v10
	v_fmac_f32_e32 v11, 0x32a5705f, v2
	v_sub_f32_e32 v10, v10, v12
	v_add_f32_e32 v10, v10, v11
	v_exp_f32_e32 v10, v10
	v_cvt_i32_f32_e32 v11, v12
	v_cmp_ngt_f32_e32 vcc, s5, v2
	v_ldexp_f32 v10, v10, v11
	v_cndmask_b32_e32 v10, 0, v10, vcc
	v_cmp_nlt_f32_e32 vcc, s6, v2
	v_add_u32_e32 v2, 0xfffffc00, v1
	v_cndmask_b32_e32 v12, v8, v10, vcc
	v_lshlrev_b64 v[10:11], 2, v[2:3]
	v_fmac_f32_e32 v7, v12, v13
	v_add_co_u32_e32 v10, vcc, s0, v10
	v_addc_co_u32_e32 v11, vcc, v9, v11, vcc
	global_load_dword v2, v[10:11], off
	s_waitcnt vmcnt(0)
	v_fmac_f32_e32 v6, v2, v12
	ds_read2_b64 v[10:13], v16 offset0:4 offset1:5
	s_waitcnt lgkmcnt(0)
	v_sub_f32_e32 v2, v10, v5
	v_mul_f32_e32 v10, 0x3fb8aa3b, v2
	v_fma_f32 v14, v2, s4, -v10
	v_rndne_f32_e32 v15, v10
	v_fmac_f32_e32 v14, 0x32a5705f, v2
	v_sub_f32_e32 v10, v10, v15
	v_add_f32_e32 v10, v10, v14
	v_exp_f32_e32 v10, v10
	v_cvt_i32_f32_e32 v14, v15
	v_cmp_ngt_f32_e32 vcc, s5, v2
	v_ldexp_f32 v10, v10, v14
	v_cndmask_b32_e32 v10, 0, v10, vcc
	v_cmp_nlt_f32_e32 vcc, s6, v2
	v_add_u32_e32 v2, 0xfffffd00, v1
	v_lshlrev_b64 v[14:15], 2, v[2:3]
	v_cndmask_b32_e32 v10, v8, v10, vcc
	v_add_co_u32_e32 v14, vcc, s0, v14
	v_addc_co_u32_e32 v15, vcc, v9, v15, vcc
	global_load_dword v2, v[14:15], off
	v_fmac_f32_e32 v7, v10, v11
	s_waitcnt vmcnt(0)
	v_fmac_f32_e32 v6, v2, v10
	v_sub_f32_e32 v2, v12, v5
	v_mul_f32_e32 v10, 0x3fb8aa3b, v2
	v_fma_f32 v11, v2, s4, -v10
	v_rndne_f32_e32 v12, v10
	v_fmac_f32_e32 v11, 0x32a5705f, v2
	v_sub_f32_e32 v10, v10, v12
	v_add_f32_e32 v10, v10, v11
	v_exp_f32_e32 v10, v10
	v_cvt_i32_f32_e32 v11, v12
	v_cmp_ngt_f32_e32 vcc, s5, v2
	v_ldexp_f32 v10, v10, v11
	v_cndmask_b32_e32 v10, 0, v10, vcc
	v_cmp_nlt_f32_e32 vcc, s6, v2
	v_add_u32_e32 v2, 0xfffffe00, v1
	v_cndmask_b32_e32 v12, v8, v10, vcc
	v_lshlrev_b64 v[10:11], 2, v[2:3]
	v_fmac_f32_e32 v7, v12, v13
	v_add_co_u32_e32 v10, vcc, s0, v10
	v_addc_co_u32_e32 v11, vcc, v9, v11, vcc
	global_load_dword v2, v[10:11], off
	s_waitcnt vmcnt(0)
	v_fmac_f32_e32 v6, v2, v12
	ds_read2_b64 v[10:13], v16 offset0:6 offset1:7
	s_waitcnt lgkmcnt(0)
	v_sub_f32_e32 v2, v10, v5
	v_mul_f32_e32 v10, 0x3fb8aa3b, v2
	v_fma_f32 v14, v2, s4, -v10
	v_rndne_f32_e32 v15, v10
	v_fmac_f32_e32 v14, 0x32a5705f, v2
	v_sub_f32_e32 v10, v10, v15
	v_add_f32_e32 v10, v10, v14
	v_exp_f32_e32 v10, v10
	v_cvt_i32_f32_e32 v14, v15
	v_cmp_ngt_f32_e32 vcc, s5, v2
	v_ldexp_f32 v10, v10, v14
	v_cndmask_b32_e32 v10, 0, v10, vcc
	v_cmp_nlt_f32_e32 vcc, s6, v2
	v_add_u32_e32 v2, 0xffffff00, v1
	v_lshlrev_b64 v[14:15], 2, v[2:3]
	v_cndmask_b32_e32 v10, v8, v10, vcc
	v_add_co_u32_e32 v14, vcc, s0, v14
	v_addc_co_u32_e32 v15, vcc, v9, v15, vcc
	global_load_dword v2, v[14:15], off
	v_fmac_f32_e32 v7, v10, v11
	s_waitcnt vmcnt(0)
	v_fmac_f32_e32 v6, v2, v10
	v_sub_f32_e32 v2, v12, v5
	v_mul_f32_e32 v10, 0x3fb8aa3b, v2
	v_fma_f32 v11, v2, s4, -v10
	v_rndne_f32_e32 v12, v10
	v_fmac_f32_e32 v11, 0x32a5705f, v2
	v_sub_f32_e32 v10, v10, v12
	v_add_f32_e32 v10, v10, v11
	v_exp_f32_e32 v10, v10
	v_cvt_i32_f32_e32 v11, v12
	v_cmp_ngt_f32_e32 vcc, s5, v2
	v_ldexp_f32 v10, v10, v11
	v_cndmask_b32_e32 v10, 0, v10, vcc
	v_cmp_nlt_f32_e32 vcc, s6, v2
	v_mov_b32_e32 v2, v3
	v_cndmask_b32_e32 v12, v8, v10, vcc
	v_lshlrev_b64 v[10:11], 2, v[1:2]
	v_fmac_f32_e32 v7, v12, v13
	v_add_co_u32_e32 v10, vcc, s0, v10
	v_addc_co_u32_e32 v11, vcc, v9, v11, vcc
	global_load_dword v2, v[10:11], off
	v_add_u32_e32 v1, 0x800, v1
	s_waitcnt vmcnt(0)
	v_fmac_f32_e32 v6, v2, v12
	s_cbranch_scc0 .LBB26_14
; %bb.15:
	s_and_b32 s3, s9, 7
	s_cmp_eq_u32 s3, 0
	s_cbranch_scc0 .LBB26_18
	s_branch .LBB26_20
.LBB26_16:
	v_mov_b32_e32 v0, 0x7fc00000
	s_branch .LBB26_21
.LBB26_17:
	s_mov_b32 s2, 0
	v_mov_b32_e32 v6, 0
	v_mov_b32_e32 v7, 0
	s_and_b32 s3, s9, 7
	s_cmp_eq_u32 s3, 0
	s_cbranch_scc1 .LBB26_20
.LBB26_18:
	v_lshl_or_b32 v0, s2, 8, v0
	s_lshl_b32 s2, s2, 3
	s_add_i32 s2, s2, 0
	s_mov_b32 s4, 0x3fb8aa3b
	s_mov_b32 s5, 0xc2ce8ed0
	;; [unrolled: 1-line block ×3, first 2 shown]
	v_mov_b32_e32 v2, 0x7f800000
	v_mov_b32_e32 v1, 0
	;; [unrolled: 1-line block ×3, first 2 shown]
.LBB26_19:                              ; =>This Inner Loop Header: Depth=1
	v_lshlrev_b64 v[8:9], 2, v[0:1]
	s_add_i32 s3, s3, -1
	v_add_co_u32_e32 v8, vcc, s0, v8
	v_addc_co_u32_e32 v9, vcc, v3, v9, vcc
	global_load_dword v10, v[8:9], off
	v_mov_b32_e32 v8, s2
	ds_read_b64 v[8:9], v8
	s_add_i32 s2, s2, 8
	v_add_u32_e32 v0, 0x100, v0
	s_cmp_lg_u32 s3, 0
	s_waitcnt lgkmcnt(0)
	v_sub_f32_e32 v8, v8, v5
	v_mul_f32_e32 v11, 0x3fb8aa3b, v8
	v_fma_f32 v12, v8, s4, -v11
	v_rndne_f32_e32 v13, v11
	v_fmac_f32_e32 v12, 0x32a5705f, v8
	v_sub_f32_e32 v11, v11, v13
	v_add_f32_e32 v11, v11, v12
	v_cvt_i32_f32_e32 v13, v13
	v_exp_f32_e32 v11, v11
	v_cmp_ngt_f32_e32 vcc, s5, v8
	v_ldexp_f32 v11, v11, v13
	v_cndmask_b32_e32 v11, 0, v11, vcc
	v_cmp_nlt_f32_e32 vcc, s6, v8
	v_cndmask_b32_e32 v8, v2, v11, vcc
	v_fmac_f32_e32 v7, v8, v9
	s_waitcnt vmcnt(0)
	v_fmac_f32_e32 v6, v10, v8
	s_cbranch_scc1 .LBB26_19
.LBB26_20:
	v_div_scale_f32 v0, s[0:1], v7, v7, v6
	v_div_scale_f32 v1, vcc, v6, v7, v6
	v_rcp_f32_e32 v2, v0
	v_fma_f32 v3, -v0, v2, 1.0
	v_fmac_f32_e32 v2, v3, v2
	v_mul_f32_e32 v3, v1, v2
	s_waitcnt lgkmcnt(0)
	v_fma_f32 v5, -v0, v3, v1
	v_fmac_f32_e32 v3, v5, v2
	v_fma_f32 v0, -v0, v3, v1
	v_div_fmas_f32 v0, v0, v2, v3
	v_div_fixup_f32 v0, v0, v7, v6
.LBB26_21:
	s_lshl_b32 s0, s8, 8
	s_ashr_i32 s1, s0, 31
	s_lshl_b64 s[0:1], s[0:1], 2
	s_add_u32 s0, s10, s0
	s_addc_u32 s1, s11, s1
	global_store_dword v4, v0, s[0:1]
	s_endpgm
	.section	.rodata,"a",@progbits
	.p2align	6, 0x0
	.amdhsa_kernel _ZL26flash_attn_combine_resultsILi256EEvPKfPK15HIP_vector_typeIfLj2EEPfi
		.amdhsa_group_segment_fixed_size 0
		.amdhsa_private_segment_fixed_size 0
		.amdhsa_kernarg_size 288
		.amdhsa_user_sgpr_count 6
		.amdhsa_user_sgpr_private_segment_buffer 1
		.amdhsa_user_sgpr_dispatch_ptr 0
		.amdhsa_user_sgpr_queue_ptr 0
		.amdhsa_user_sgpr_kernarg_segment_ptr 1
		.amdhsa_user_sgpr_dispatch_id 0
		.amdhsa_user_sgpr_flat_scratch_init 0
		.amdhsa_user_sgpr_private_segment_size 0
		.amdhsa_uses_dynamic_stack 0
		.amdhsa_system_sgpr_private_segment_wavefront_offset 0
		.amdhsa_system_sgpr_workgroup_id_x 1
		.amdhsa_system_sgpr_workgroup_id_y 1
		.amdhsa_system_sgpr_workgroup_id_z 1
		.amdhsa_system_sgpr_workgroup_info 0
		.amdhsa_system_vgpr_workitem_id 0
		.amdhsa_next_free_vgpr 17
		.amdhsa_next_free_sgpr 16
		.amdhsa_reserve_vcc 1
		.amdhsa_reserve_flat_scratch 0
		.amdhsa_float_round_mode_32 0
		.amdhsa_float_round_mode_16_64 0
		.amdhsa_float_denorm_mode_32 3
		.amdhsa_float_denorm_mode_16_64 3
		.amdhsa_dx10_clamp 1
		.amdhsa_ieee_mode 1
		.amdhsa_fp16_overflow 0
		.amdhsa_exception_fp_ieee_invalid_op 0
		.amdhsa_exception_fp_denorm_src 0
		.amdhsa_exception_fp_ieee_div_zero 0
		.amdhsa_exception_fp_ieee_overflow 0
		.amdhsa_exception_fp_ieee_underflow 0
		.amdhsa_exception_fp_ieee_inexact 0
		.amdhsa_exception_int_div_zero 0
	.end_amdhsa_kernel
	.section	.text._ZL26flash_attn_combine_resultsILi256EEvPKfPK15HIP_vector_typeIfLj2EEPfi,"axG",@progbits,_ZL26flash_attn_combine_resultsILi256EEvPKfPK15HIP_vector_typeIfLj2EEPfi,comdat
.Lfunc_end26:
	.size	_ZL26flash_attn_combine_resultsILi256EEvPKfPK15HIP_vector_typeIfLj2EEPfi, .Lfunc_end26-_ZL26flash_attn_combine_resultsILi256EEvPKfPK15HIP_vector_typeIfLj2EEPfi
                                        ; -- End function
	.set _ZL26flash_attn_combine_resultsILi256EEvPKfPK15HIP_vector_typeIfLj2EEPfi.num_vgpr, 17
	.set _ZL26flash_attn_combine_resultsILi256EEvPKfPK15HIP_vector_typeIfLj2EEPfi.num_agpr, 0
	.set _ZL26flash_attn_combine_resultsILi256EEvPKfPK15HIP_vector_typeIfLj2EEPfi.numbered_sgpr, 16
	.set _ZL26flash_attn_combine_resultsILi256EEvPKfPK15HIP_vector_typeIfLj2EEPfi.num_named_barrier, 0
	.set _ZL26flash_attn_combine_resultsILi256EEvPKfPK15HIP_vector_typeIfLj2EEPfi.private_seg_size, 0
	.set _ZL26flash_attn_combine_resultsILi256EEvPKfPK15HIP_vector_typeIfLj2EEPfi.uses_vcc, 1
	.set _ZL26flash_attn_combine_resultsILi256EEvPKfPK15HIP_vector_typeIfLj2EEPfi.uses_flat_scratch, 0
	.set _ZL26flash_attn_combine_resultsILi256EEvPKfPK15HIP_vector_typeIfLj2EEPfi.has_dyn_sized_stack, 0
	.set _ZL26flash_attn_combine_resultsILi256EEvPKfPK15HIP_vector_typeIfLj2EEPfi.has_recursion, 0
	.set _ZL26flash_attn_combine_resultsILi256EEvPKfPK15HIP_vector_typeIfLj2EEPfi.has_indirect_call, 0
	.section	.AMDGPU.csdata,"",@progbits
; Kernel info:
; codeLenInByte = 1908
; TotalNumSgprs: 20
; NumVgprs: 17
; ScratchSize: 0
; MemoryBound: 0
; FloatMode: 240
; IeeeMode: 1
; LDSByteSize: 0 bytes/workgroup (compile time only)
; SGPRBlocks: 2
; VGPRBlocks: 4
; NumSGPRsForWavesPerEU: 20
; NumVGPRsForWavesPerEU: 17
; Occupancy: 10
; WaveLimiterHint : 0
; COMPUTE_PGM_RSRC2:SCRATCH_EN: 0
; COMPUTE_PGM_RSRC2:USER_SGPR: 6
; COMPUTE_PGM_RSRC2:TRAP_HANDLER: 0
; COMPUTE_PGM_RSRC2:TGID_X_EN: 1
; COMPUTE_PGM_RSRC2:TGID_Y_EN: 1
; COMPUTE_PGM_RSRC2:TGID_Z_EN: 1
; COMPUTE_PGM_RSRC2:TIDIG_COMP_CNT: 0
	.section	.text._ZL18flash_attn_ext_vecILi256ELi1EL9ggml_type2ELS0_8ELb1EEvPKcS2_S2_S2_S2_PKiPfP15HIP_vector_typeIfLj2EEffffjfiS6_IjLj3EEiiiiiiiiiiiliiliiiiil,"axG",@progbits,_ZL18flash_attn_ext_vecILi256ELi1EL9ggml_type2ELS0_8ELb1EEvPKcS2_S2_S2_S2_PKiPfP15HIP_vector_typeIfLj2EEffffjfiS6_IjLj3EEiiiiiiiiiiiliiliiiiil,comdat
	.globl	_ZL18flash_attn_ext_vecILi256ELi1EL9ggml_type2ELS0_8ELb1EEvPKcS2_S2_S2_S2_PKiPfP15HIP_vector_typeIfLj2EEffffjfiS6_IjLj3EEiiiiiiiiiiiliiliiiiil ; -- Begin function _ZL18flash_attn_ext_vecILi256ELi1EL9ggml_type2ELS0_8ELb1EEvPKcS2_S2_S2_S2_PKiPfP15HIP_vector_typeIfLj2EEffffjfiS6_IjLj3EEiiiiiiiiiiiliiliiiiil
	.p2align	8
	.type	_ZL18flash_attn_ext_vecILi256ELi1EL9ggml_type2ELS0_8ELb1EEvPKcS2_S2_S2_S2_PKiPfP15HIP_vector_typeIfLj2EEffffjfiS6_IjLj3EEiiiiiiiiiiiliiliiiiil,@function
_ZL18flash_attn_ext_vecILi256ELi1EL9ggml_type2ELS0_8ELb1EEvPKcS2_S2_S2_S2_PKiPfP15HIP_vector_typeIfLj2EEffffjfiS6_IjLj3EEiiiiiiiiiiiliiliiiiil: ; @_ZL18flash_attn_ext_vecILi256ELi1EL9ggml_type2ELS0_8ELb1EEvPKcS2_S2_S2_S2_PKiPfP15HIP_vector_typeIfLj2EEffffjfiS6_IjLj3EEiiiiiiiiiiiliiliiiiil
; %bb.0:
	s_load_dwordx2 s[34:35], s[4:5], 0x64
	s_load_dwordx2 s[38:39], s[4:5], 0x80
	;; [unrolled: 1-line block ×3, first 2 shown]
	s_load_dwordx4 s[28:31], s[4:5], 0x40
	s_load_dwordx2 s[40:41], s[4:5], 0x50
	v_mov_b32_e32 v51, 1.0
	s_waitcnt lgkmcnt(0)
	v_cvt_f32_u32_e32 v2, s35
	s_sub_i32 s0, 0, s35
	v_rcp_iflag_f32_e32 v2, v2
	v_mul_f32_e32 v2, 0x4f7ffffe, v2
	v_cvt_u32_f32_e32 v2, v2
	v_readfirstlane_b32 s1, v2
	s_mul_i32 s0, s0, s1
	s_mul_hi_u32 s0, s1, s0
	s_add_i32 s1, s1, s0
	s_mul_hi_u32 s0, s8, s1
	s_mul_i32 s1, s0, s35
	s_sub_i32 s1, s8, s1
	s_add_i32 s2, s0, 1
	s_sub_i32 s3, s1, s35
	s_cmp_ge_u32 s1, s35
	s_cselect_b32 s0, s2, s0
	s_cselect_b32 s1, s3, s1
	s_add_i32 s2, s0, 1
	s_cmp_ge_u32 s1, s35
	s_cselect_b32 s33, s2, s0
	s_abs_i32 s0, s39
	v_cvt_f32_u32_e32 v2, s0
	s_mul_i32 s3, s33, s35
	s_sub_i32 s9, 0, s0
	s_sub_i32 s36, s8, s3
	v_rcp_iflag_f32_e32 v2, v2
	s_abs_i32 s2, s35
	s_xor_b32 s1, s35, s39
	s_ashr_i32 s1, s1, 31
	v_mul_f32_e32 v2, 0x4f7ffffe, v2
	v_cvt_u32_f32_e32 v2, v2
	v_readfirstlane_b32 s3, v2
	s_mul_i32 s9, s9, s3
	s_mul_hi_u32 s8, s3, s9
	s_add_i32 s3, s3, s8
	s_mul_hi_u32 s3, s2, s3
	s_mul_i32 s8, s3, s0
	s_sub_i32 s2, s2, s8
	s_add_i32 s9, s3, 1
	s_sub_i32 s8, s2, s0
	s_cmp_ge_u32 s2, s0
	s_cselect_b32 s3, s9, s3
	s_cselect_b32 s2, s8, s2
	s_add_i32 s8, s3, 1
	s_cmp_ge_u32 s2, s0
	s_cselect_b32 s0, s8, s3
	s_xor_b32 s0, s0, s1
	s_sub_i32 s43, s0, s1
	s_abs_i32 s39, s44
	s_abs_i32 s44, s43
	v_cvt_f32_u32_e32 v2, s39
	v_cvt_f32_u32_e32 v3, s44
	s_sub_i32 s0, 0, s39
	s_sub_i32 s1, 0, s44
	v_rcp_iflag_f32_e32 v2, v2
	v_rcp_iflag_f32_e32 v3, v3
	s_abs_i32 s46, s36
	s_abs_i32 s42, s33
	v_mul_f32_e32 v2, 0x4f7ffffe, v2
	v_mul_f32_e32 v3, 0x4f7ffffe, v3
	v_cvt_u32_f32_e32 v2, v2
	v_cvt_u32_f32_e32 v3, v3
	v_readfirstlane_b32 s9, v2
	v_readfirstlane_b32 s8, v3
	s_mul_i32 s1, s1, s8
	s_mul_i32 s0, s0, s9
	s_mul_hi_u32 s1, s8, s1
	s_mul_hi_u32 s0, s9, s0
	s_add_i32 s8, s8, s1
	s_add_i32 s9, s9, s0
	v_cmp_le_f32_e64 s[0:1], s29, 0
	s_and_b64 vcc, exec, s[0:1]
	s_cbranch_vccnz .LBB27_2
; %bb.1:
	v_mov_b32_e32 v2, s40
	v_sub_co_u32_e32 v2, vcc, s36, v2
	v_mov_b32_e32 v3, s31
	v_mov_b32_e32 v4, s30
	s_add_i32 s0, s36, 1
	v_lshlrev_b32_e32 v2, 1, v2
	v_cndmask_b32_e32 v3, v3, v4, vcc
	v_or_b32_e32 v2, 1, v2
	v_mov_b32_e32 v4, s0
	v_cndmask_b32_e32 v2, v2, v4, vcc
	v_cvt_f32_i32_e32 v2, v2
	v_cmp_neq_f32_e32 vcc, 1.0, v3
	s_mov_b32 s0, 0x3f2aaaab
	s_movk_i32 s2, 0x204
	v_cndmask_b32_e32 v4, 1.0, v2, vcc
	v_cmp_neq_f32_e32 vcc, 0, v4
	v_cndmask_b32_e32 v5, 1.0, v3, vcc
	v_frexp_mant_f32_e64 v2, |v5|
	v_cmp_gt_f32_e32 vcc, s0, v2
	v_cndmask_b32_e64 v3, 1.0, 2.0, vcc
	v_mul_f32_e32 v2, v2, v3
	v_add_f32_e32 v3, 1.0, v2
	v_rcp_f32_e32 v6, v3
	v_add_f32_e32 v7, -1.0, v2
	v_add_f32_e32 v8, -1.0, v3
	v_sub_f32_e32 v2, v2, v8
	v_mul_f32_e32 v8, v7, v6
	v_mul_f32_e32 v9, v3, v8
	v_fma_f32 v3, v8, v3, -v9
	v_fmac_f32_e32 v3, v8, v2
	v_add_f32_e32 v2, v9, v3
	v_sub_f32_e32 v10, v7, v2
	v_sub_f32_e32 v9, v2, v9
	;; [unrolled: 1-line block ×5, first 2 shown]
	v_add_f32_e32 v2, v3, v2
	v_add_f32_e32 v2, v10, v2
	v_mul_f32_e32 v2, v6, v2
	v_add_f32_e32 v6, v8, v2
	v_sub_f32_e32 v3, v6, v8
	v_sub_f32_e32 v7, v2, v3
	v_mul_f32_e32 v2, v6, v6
	v_fma_f32 v3, v6, v6, -v2
	v_add_f32_e32 v8, v7, v7
	v_fmac_f32_e32 v3, v6, v8
	v_add_f32_e32 v8, v2, v3
	v_mov_b32_e32 v9, 0x3e91f4c4
	v_sub_f32_e32 v2, v8, v2
	v_fmac_f32_e32 v9, 0x3e76c4e1, v8
	v_mov_b32_e32 v10, 0x3ecccdef
	v_sub_f32_e32 v2, v3, v2
	v_mul_f32_e32 v3, v6, v8
	v_fmac_f32_e32 v10, v8, v9
	v_fma_f32 v9, v8, v6, -v3
	v_fmac_f32_e32 v9, v8, v7
	v_fmac_f32_e32 v9, v2, v6
	v_add_f32_e32 v11, v3, v9
	v_sub_f32_e32 v3, v11, v3
	v_sub_f32_e32 v9, v9, v3
	v_mul_f32_e32 v3, v8, v10
	v_fma_f32 v8, v8, v10, -v3
	v_fmac_f32_e32 v8, v2, v10
	v_add_f32_e32 v10, v3, v8
	v_sub_f32_e32 v2, v10, v3
	v_sub_f32_e32 v8, v8, v2
	v_cvt_f64_f32_e64 v[2:3], |v5|
	v_add_f32_e32 v12, 0x3f2aaaaa, v10
	v_add_f32_e32 v13, 0xbf2aaaaa, v12
	;; [unrolled: 1-line block ×3, first 2 shown]
	v_frexp_exp_i32_f64_e32 v2, v[2:3]
	v_sub_f32_e32 v10, v10, v13
	v_add_f32_e32 v3, v8, v10
	v_add_f32_e32 v8, v12, v3
	v_sub_f32_e32 v10, v12, v8
	v_add_f32_e32 v3, v3, v10
	v_mul_f32_e32 v10, v11, v8
	v_fma_f32 v12, v11, v8, -v10
	v_subbrev_co_u32_e32 v2, vcc, 0, v2, vcc
	v_cvt_f32_i32_e32 v2, v2
	v_fmac_f32_e32 v12, v11, v3
	s_mov_b32 s0, 0x3f317218
	v_fmac_f32_e32 v12, v9, v8
	v_mul_f32_e32 v3, 0x3f317218, v2
	v_fma_f32 v8, v2, s0, -v3
	v_fmac_f32_e32 v8, 0xb102e308, v2
	v_ldexp_f32 v2, v7, 1
	v_add_f32_e32 v7, v3, v8
	v_sub_f32_e32 v3, v7, v3
	v_ldexp_f32 v6, v6, 1
	v_sub_f32_e32 v3, v8, v3
	v_add_f32_e32 v8, v10, v12
	v_sub_f32_e32 v9, v8, v10
	v_add_f32_e32 v10, v6, v8
	v_sub_f32_e32 v9, v12, v9
	v_sub_f32_e32 v6, v10, v6
	;; [unrolled: 1-line block ×3, first 2 shown]
	v_add_f32_e32 v2, v2, v9
	v_add_f32_e32 v2, v2, v6
	;; [unrolled: 1-line block ×3, first 2 shown]
	v_sub_f32_e32 v8, v6, v10
	v_sub_f32_e32 v2, v2, v8
	v_add_f32_e32 v8, v7, v6
	v_sub_f32_e32 v9, v8, v7
	v_sub_f32_e32 v10, v8, v9
	;; [unrolled: 1-line block ×4, first 2 shown]
	v_add_f32_e32 v6, v6, v7
	v_add_f32_e32 v7, v3, v2
	v_sub_f32_e32 v9, v7, v3
	v_sub_f32_e32 v10, v7, v9
	v_sub_f32_e32 v3, v3, v10
	v_sub_f32_e32 v2, v2, v9
	v_add_f32_e32 v2, v2, v3
	v_add_f32_e32 v3, v7, v6
	;; [unrolled: 1-line block ×3, first 2 shown]
	v_sub_f32_e32 v7, v6, v8
	v_sub_f32_e32 v3, v3, v7
	v_add_f32_e32 v2, v2, v3
	v_add_f32_e32 v3, v6, v2
	v_sub_f32_e32 v6, v3, v6
	v_sub_f32_e32 v2, v2, v6
	v_mul_f32_e32 v6, v4, v3
	v_fma_f32 v3, v4, v3, -v6
	v_fmac_f32_e32 v3, v4, v2
	v_add_f32_e32 v2, v6, v3
	v_cmp_class_f32_e64 vcc, v6, s2
	v_sub_f32_e32 v7, v2, v6
	v_cndmask_b32_e32 v2, v2, v6, vcc
	s_mov_b32 s1, 0x42b17218
	v_mov_b32_e32 v6, 0x37000000
	v_cmp_eq_f32_e32 vcc, s1, v2
	v_cndmask_b32_e32 v6, 0, v6, vcc
	v_sub_f32_e32 v3, v3, v7
	v_sub_f32_e32 v7, v2, v6
	s_mov_b32 s3, 0x3fb8aa3b
	v_mul_f32_e32 v8, 0x3fb8aa3b, v7
	v_fma_f32 v9, v7, s3, -v8
	v_rndne_f32_e32 v10, v8
	v_fmac_f32_e32 v9, 0x32a5705f, v7
	v_sub_f32_e32 v8, v8, v10
	v_add_f32_e32 v8, v8, v9
	v_exp_f32_e32 v8, v8
	v_cvt_i32_f32_e32 v9, v10
	s_mov_b32 s0, 0x7f800000
	v_cmp_neq_f32_e64 vcc, |v2|, s0
	s_mov_b32 s0, 0xc2ce8ed0
	v_cndmask_b32_e32 v2, 0, v3, vcc
	v_ldexp_f32 v3, v8, v9
	v_cmp_ngt_f32_e32 vcc, s0, v7
	v_add_f32_e32 v2, v6, v2
	v_cndmask_b32_e32 v3, 0, v3, vcc
	v_mov_b32_e32 v6, 0x7f800000
	v_cmp_nlt_f32_e32 vcc, s1, v7
	v_cndmask_b32_e32 v3, v6, v3, vcc
	v_fma_f32 v2, v3, v2, v3
	v_cmp_class_f32_e64 vcc, v3, s2
	v_cndmask_b32_e32 v2, v2, v3, vcc
	v_trunc_f32_e32 v3, v4
	v_cmp_eq_f32_e32 vcc, v3, v4
	v_mul_f32_e32 v3, 0.5, v4
	v_trunc_f32_e32 v8, v3
	v_cmp_neq_f32_e64 s[0:1], v8, v3
	s_and_b64 s[0:1], vcc, s[0:1]
	v_cndmask_b32_e64 v3, 1.0, v5, s[0:1]
	s_brev_b32 s12, -2
	v_mov_b32_e32 v7, 0x7fc00000
	v_bfi_b32 v2, s12, v2, v3
	v_cndmask_b32_e32 v3, v7, v2, vcc
	v_cmp_gt_f32_e32 vcc, 0, v5
	v_cndmask_b32_e32 v2, v2, v3, vcc
	v_cmp_class_f32_e64 s[10:11], v5, s2
	v_cmp_eq_f32_e32 vcc, 0, v5
	v_cmp_gt_f32_e64 s[2:3], 0, v4
	s_xor_b64 s[2:3], s[2:3], vcc
	v_cndmask_b32_e64 v3, v6, 0, s[2:3]
	v_cndmask_b32_e64 v4, 0, v5, s[0:1]
	v_bfi_b32 v3, s12, v3, v4
	s_or_b64 vcc, vcc, s[10:11]
	v_cndmask_b32_e32 v2, v2, v3, vcc
	v_cmp_o_f32_e32 vcc, v5, v5
	v_cndmask_b32_e32 v51, v7, v2, vcc
.LBB27_2:
	s_load_dwordx16 s[12:27], s[4:5], 0x0
	s_mul_hi_u32 s47, s46, s8
	s_mul_hi_u32 s40, s42, s9
	v_cmp_eq_u32_e64 s[0:1], 0, v1
	v_mbcnt_lo_u32_b32 v50, -1, 0
	s_and_saveexec_b64 s[30:31], s[0:1]
	s_cbranch_execz .LBB27_11
; %bb.3:
	s_load_dwordx4 s[8:11], s[4:5], 0x70
	v_lshlrev_b32_e32 v2, 4, v0
	v_mbcnt_hi_u32_b32 v3, -1, v50
	v_and_b32_e32 v4, 0x60, v3
	v_xor_b32_e32 v5, 4, v3
	s_waitcnt lgkmcnt(0)
	s_mul_i32 s2, s33, s10
	s_mul_i32 s8, s8, s6
	;; [unrolled: 1-line block ×3, first 2 shown]
	s_add_i32 s2, s2, s8
	s_add_i32 s2, s2, s3
	s_ashr_i32 s3, s2, 31
	s_add_u32 s2, s12, s2
	s_addc_u32 s3, s13, s3
	global_load_dwordx4 v[14:17], v2, s[2:3]
	v_add_u32_e32 v4, 32, v4
	v_cmp_lt_i32_e32 vcc, v5, v4
	v_cndmask_b32_e32 v5, v3, v5, vcc
	v_lshlrev_b32_e32 v6, 2, v5
	s_mov_b32 s10, 0x42fe0000
	s_waitcnt vmcnt(0)
	v_mul_f32_e32 v13, s28, v14
	v_mul_f32_e32 v10, s28, v15
	;; [unrolled: 1-line block ×4, first 2 shown]
	v_max_f32_e64 v7, |v13|, |v10|
	v_max3_f32 v8, v7, |v9|, |v5|
	ds_bpermute_b32 v11, v6, v8
	v_xor_b32_e32 v7, 2, v3
	v_cmp_lt_i32_e32 vcc, v7, v4
	v_cndmask_b32_e32 v7, v3, v7, vcc
	v_lshlrev_b32_e32 v7, 2, v7
	s_waitcnt lgkmcnt(0)
	v_max_f32_e32 v11, v11, v11
	v_max_f32_e32 v11, v8, v11
	ds_bpermute_b32 v12, v7, v11
	v_xor_b32_e32 v8, 1, v3
	v_cmp_lt_i32_e32 vcc, v8, v4
	v_cndmask_b32_e32 v3, v3, v8, vcc
	v_lshlrev_b32_e32 v8, 2, v3
	s_waitcnt lgkmcnt(0)
	v_max_f32_e32 v3, v12, v12
	v_max_f32_e32 v3, v11, v3
	ds_bpermute_b32 v4, v8, v3
	v_fma_f32 v12, s28, v14, v10
	v_fmac_f32_e32 v12, s28, v16
	v_fmac_f32_e32 v12, s28, v17
	ds_bpermute_b32 v15, v6, v12
	s_waitcnt lgkmcnt(1)
	v_max_f32_e32 v4, v4, v4
	v_max_f32_e32 v4, v3, v4
	v_div_scale_f32 v3, s[8:9], s10, s10, v4
	v_div_scale_f32 v11, vcc, v4, s10, v4
	v_rcp_f32_e32 v14, v3
	v_fma_f32 v16, -v3, v14, 1.0
	v_fmac_f32_e32 v14, v16, v14
	v_mul_f32_e32 v16, v11, v14
	v_fma_f32 v17, -v3, v16, v11
	v_fmac_f32_e32 v16, v17, v14
	v_fma_f32 v3, -v3, v16, v11
	v_div_fmas_f32 v16, v3, v14, v16
	s_waitcnt lgkmcnt(0)
	v_add_f32_e32 v3, v12, v15
	ds_bpermute_b32 v11, v7, v3
	v_mov_b32_e32 v15, s3
	v_add_co_u32_e32 v2, vcc, s2, v2
	v_mov_b32_e32 v14, 0
	s_waitcnt lgkmcnt(0)
	v_add_f32_e32 v11, v3, v11
	ds_bpermute_b32 v12, v8, v11
	v_addc_co_u32_e32 v3, vcc, 0, v15, vcc
	v_div_fixup_f32 v4, v16, s10, v4
	v_cmp_neq_f32_e32 vcc, 0, v4
	s_and_saveexec_b64 s[12:13], vcc
	s_cbranch_execz .LBB27_5
; %bb.4:
	v_div_scale_f32 v14, s[2:3], v4, v4, v13
	v_div_scale_f32 v17, vcc, v13, v4, v13
	v_div_scale_f32 v15, s[2:3], v4, v4, v10
	v_div_scale_f32 v16, s[2:3], v4, v4, v9
	;; [unrolled: 1-line block ×5, first 2 shown]
	s_brev_b32 s29, -2
	v_rcp_f32_e32 v20, v14
	v_rcp_f32_e32 v22, v15
	v_fma_f32 v24, -v14, v20, 1.0
	v_fmac_f32_e32 v20, v24, v20
	v_mul_f32_e32 v24, v17, v20
	v_fma_f32 v25, -v14, v24, v17
	v_fmac_f32_e32 v24, v25, v20
	v_fma_f32 v14, -v14, v24, v17
	v_div_fmas_f32 v14, v14, v20, v24
	v_div_scale_f32 v17, s[10:11], v5, v4, v5
	v_fma_f32 v20, -v15, v22, 1.0
	v_fmac_f32_e32 v22, v20, v22
	v_mul_f32_e32 v20, v18, v22
	v_fma_f32 v25, -v15, v20, v18
	v_fmac_f32_e32 v20, v25, v22
	v_rcp_f32_e32 v23, v16
	v_fma_f32 v15, -v15, v20, v18
	s_mov_b64 vcc, s[2:3]
	v_div_fmas_f32 v15, v15, v22, v20
	v_fma_f32 v24, -v16, v23, 1.0
	v_fmac_f32_e32 v23, v24, v23
	v_mul_f32_e32 v24, v19, v23
	v_fma_f32 v26, -v16, v24, v19
	v_div_fixup_f32 v13, v14, v4, v13
	v_trunc_f32_e32 v14, v13
	v_sub_f32_e32 v18, v13, v14
	v_cmp_ge_f32_e64 s[2:3], |v18|, 0.5
	v_cndmask_b32_e64 v18, 0, 1.0, s[2:3]
	v_bfi_b32 v13, s29, v18, v13
	v_add_f32_e32 v13, v14, v13
	v_rcp_f32_e32 v14, v21
	v_fmac_f32_e32 v24, v26, v23
	v_fma_f32 v16, -v16, v24, v19
	s_mov_b64 vcc, s[8:9]
	v_fma_f32 v18, -v21, v14, 1.0
	v_fmac_f32_e32 v14, v18, v14
	v_div_fmas_f32 v16, v16, v23, v24
	v_mul_f32_e32 v18, v17, v14
	v_fma_f32 v19, -v21, v18, v17
	v_fmac_f32_e32 v18, v19, v14
	v_fma_f32 v17, -v21, v18, v17
	s_mov_b64 vcc, s[10:11]
	v_div_fmas_f32 v14, v17, v14, v18
	v_div_fixup_f32 v10, v15, v4, v10
	v_trunc_f32_e32 v15, v10
	v_sub_f32_e32 v17, v10, v15
	v_cmp_ge_f32_e64 s[2:3], |v17|, 0.5
	v_cndmask_b32_e64 v17, 0, 1.0, s[2:3]
	v_bfi_b32 v10, s29, v17, v10
	v_add_f32_e32 v10, v15, v10
	v_cvt_i32_f32_e32 v13, v13
	v_cvt_i32_f32_e32 v10, v10
	v_div_fixup_f32 v9, v16, v4, v9
	v_trunc_f32_e32 v15, v9
	v_sub_f32_e32 v16, v9, v15
	v_cmp_ge_f32_e64 s[2:3], |v16|, 0.5
	v_cndmask_b32_e64 v16, 0, 1.0, s[2:3]
	v_bfi_b32 v9, s29, v16, v9
	v_div_fixup_f32 v5, v14, v4, v5
	v_trunc_f32_e32 v14, v5
	v_add_f32_e32 v9, v15, v9
	v_sub_f32_e32 v15, v5, v14
	v_cmp_ge_f32_e64 s[2:3], |v15|, 0.5
	v_cndmask_b32_e64 v15, 0, 1.0, s[2:3]
	v_cvt_i32_f32_e32 v9, v9
	v_bfi_b32 v5, s29, v15, v5
	v_add_f32_e32 v5, v14, v5
	v_cvt_i32_f32_e32 v5, v5
	v_and_b32_e32 v9, 0xff, v9
	v_lshlrev_b32_e32 v9, 16, v9
	v_lshl_or_b32 v5, v5, 24, v9
	v_mov_b32_e32 v9, 8
	v_lshlrev_b32_sdwa v9, v9, v10 dst_sel:DWORD dst_unused:UNUSED_PAD src0_sel:DWORD src1_sel:BYTE_0
	v_and_b32_e32 v10, 0xff, v13
	v_or3_b32 v14, v5, v9, v10
.LBB27_5:
	s_or_b64 exec, exec, s[12:13]
	v_and_b32_e32 v5, 7, v0
	v_lshlrev_b32_e32 v9, 2, v0
	v_cmp_eq_u32_e64 s[2:3], 0, v5
	ds_write_b32 v9, v14
	s_and_saveexec_b64 s[8:9], s[2:3]
	s_cbranch_execz .LBB27_7
; %bb.6:
	s_waitcnt lgkmcnt(1)
	v_add_f32_e32 v5, v11, v12
	ds_write_b64 v0, v[4:5] offset:256
.LBB27_7:
	s_or_b64 exec, exec, s[8:9]
	s_waitcnt lgkmcnt(1)
	global_load_dwordx4 v[11:14], v[2:3], off offset:512
	s_mov_b32 s10, 0x42fe0000
	s_waitcnt vmcnt(0)
	v_mul_f32_e32 v10, s28, v11
	v_mul_f32_e32 v5, s28, v12
	;; [unrolled: 1-line block ×4, first 2 shown]
	v_max_f32_e64 v2, |v10|, |v5|
	v_max3_f32 v2, v2, |v4|, |v3|
	ds_bpermute_b32 v12, v6, v2
	v_fma_f32 v11, s28, v11, v5
	v_fmac_f32_e32 v11, s28, v13
	v_fmac_f32_e32 v11, s28, v14
	ds_bpermute_b32 v6, v6, v11
	s_waitcnt lgkmcnt(1)
	v_max_f32_e32 v12, v12, v12
	v_max_f32_e32 v2, v2, v12
	ds_bpermute_b32 v12, v7, v2
	s_waitcnt lgkmcnt(1)
	v_add_f32_e32 v6, v11, v6
	ds_bpermute_b32 v7, v7, v6
	s_waitcnt lgkmcnt(1)
	v_max_f32_e32 v12, v12, v12
	v_max_f32_e32 v2, v2, v12
	ds_bpermute_b32 v12, v8, v2
	s_waitcnt lgkmcnt(1)
	v_add_f32_e32 v6, v6, v7
	ds_bpermute_b32 v7, v8, v6
	v_mov_b32_e32 v8, 0
	s_waitcnt lgkmcnt(1)
	v_max_f32_e32 v12, v12, v12
	v_max_f32_e32 v2, v2, v12
	v_div_scale_f32 v12, s[8:9], s10, s10, v2
	v_div_scale_f32 v15, vcc, v2, s10, v2
	v_rcp_f32_e32 v16, v12
	v_fma_f32 v13, -v12, v16, 1.0
	v_fmac_f32_e32 v16, v13, v16
	v_mul_f32_e32 v13, v15, v16
	v_fma_f32 v17, -v12, v13, v15
	v_fmac_f32_e32 v13, v17, v16
	v_fma_f32 v12, -v12, v13, v15
	v_div_fmas_f32 v12, v12, v16, v13
	v_div_fixup_f32 v2, v12, s10, v2
	v_cmp_neq_f32_e32 vcc, 0, v2
	s_and_saveexec_b64 s[28:29], vcc
	s_cbranch_execz .LBB27_9
; %bb.8:
	v_div_scale_f32 v8, s[8:9], v2, v2, v10
	v_div_scale_f32 v13, vcc, v10, v2, v10
	v_div_scale_f32 v11, s[8:9], v2, v2, v5
	v_div_scale_f32 v12, s[8:9], v2, v2, v4
	;; [unrolled: 1-line block ×5, first 2 shown]
	s_brev_b32 s37, -2
	v_rcp_f32_e32 v16, v8
	v_rcp_f32_e32 v18, v11
	v_fma_f32 v20, -v8, v16, 1.0
	v_fmac_f32_e32 v16, v20, v16
	v_mul_f32_e32 v20, v13, v16
	v_fma_f32 v21, -v8, v20, v13
	v_fmac_f32_e32 v20, v21, v16
	v_fma_f32 v8, -v8, v20, v13
	v_div_fmas_f32 v8, v8, v16, v20
	v_div_scale_f32 v13, s[12:13], v3, v2, v3
	v_fma_f32 v16, -v11, v18, 1.0
	v_fmac_f32_e32 v18, v16, v18
	v_mul_f32_e32 v16, v14, v18
	v_fma_f32 v21, -v11, v16, v14
	v_fmac_f32_e32 v16, v21, v18
	v_rcp_f32_e32 v19, v12
	v_fma_f32 v11, -v11, v16, v14
	s_mov_b64 vcc, s[8:9]
	v_div_fmas_f32 v11, v11, v18, v16
	v_fma_f32 v20, -v12, v19, 1.0
	v_fmac_f32_e32 v19, v20, v19
	v_mul_f32_e32 v20, v15, v19
	v_fma_f32 v22, -v12, v20, v15
	v_div_fixup_f32 v8, v8, v2, v10
	v_trunc_f32_e32 v10, v8
	v_sub_f32_e32 v14, v8, v10
	v_cmp_ge_f32_e64 s[8:9], |v14|, 0.5
	v_cndmask_b32_e64 v14, 0, 1.0, s[8:9]
	v_bfi_b32 v8, s37, v14, v8
	v_add_f32_e32 v8, v10, v8
	v_rcp_f32_e32 v10, v17
	v_fmac_f32_e32 v20, v22, v19
	v_fma_f32 v12, -v12, v20, v15
	s_mov_b64 vcc, s[10:11]
	v_fma_f32 v14, -v17, v10, 1.0
	v_fmac_f32_e32 v10, v14, v10
	v_div_fmas_f32 v12, v12, v19, v20
	v_mul_f32_e32 v14, v13, v10
	v_fma_f32 v15, -v17, v14, v13
	v_fmac_f32_e32 v14, v15, v10
	v_fma_f32 v13, -v17, v14, v13
	s_mov_b64 vcc, s[12:13]
	v_div_fmas_f32 v10, v13, v10, v14
	v_div_fixup_f32 v5, v11, v2, v5
	v_trunc_f32_e32 v11, v5
	v_sub_f32_e32 v13, v5, v11
	v_cmp_ge_f32_e64 s[8:9], |v13|, 0.5
	v_cndmask_b32_e64 v13, 0, 1.0, s[8:9]
	v_bfi_b32 v5, s37, v13, v5
	v_add_f32_e32 v5, v11, v5
	v_cvt_i32_f32_e32 v8, v8
	v_cvt_i32_f32_e32 v5, v5
	v_div_fixup_f32 v4, v12, v2, v4
	v_trunc_f32_e32 v11, v4
	v_sub_f32_e32 v12, v4, v11
	v_cmp_ge_f32_e64 s[8:9], |v12|, 0.5
	v_cndmask_b32_e64 v12, 0, 1.0, s[8:9]
	v_bfi_b32 v4, s37, v12, v4
	v_div_fixup_f32 v3, v10, v2, v3
	v_trunc_f32_e32 v10, v3
	v_add_f32_e32 v4, v11, v4
	v_sub_f32_e32 v11, v3, v10
	v_cmp_ge_f32_e64 s[8:9], |v11|, 0.5
	v_cndmask_b32_e64 v11, 0, 1.0, s[8:9]
	v_cvt_i32_f32_e32 v4, v4
	v_bfi_b32 v3, s37, v11, v3
	v_add_f32_e32 v3, v10, v3
	v_cvt_i32_f32_e32 v3, v3
	v_and_b32_e32 v4, 0xff, v4
	v_lshlrev_b32_e32 v4, 16, v4
	v_lshl_or_b32 v3, v3, 24, v4
	v_mov_b32_e32 v4, 8
	v_lshlrev_b32_sdwa v4, v4, v5 dst_sel:DWORD dst_unused:UNUSED_PAD src0_sel:DWORD src1_sel:BYTE_0
	v_and_b32_e32 v5, 0xff, v8
	v_or3_b32 v8, v3, v4, v5
.LBB27_9:
	s_or_b64 exec, exec, s[28:29]
	ds_write_b32 v9, v8 offset:128
	s_and_b64 exec, exec, s[2:3]
	s_cbranch_execz .LBB27_11
; %bb.10:
	s_waitcnt lgkmcnt(1)
	v_add_f32_e32 v3, v6, v7
	ds_write_b64 v0, v[2:3] offset:288
.LBB27_11:
	s_or_b64 exec, exec, s[30:31]
	v_and_b32_e32 v18, 3, v0
	v_lshlrev_b32_e32 v10, 2, v18
	v_mov_b32_e32 v55, 0
	s_waitcnt lgkmcnt(0)
	s_barrier
	ds_read2_b32 v[34:35], v10 offset1:4
	ds_read2_b32 v[36:37], v10 offset0:8 offset1:12
	ds_read_b128 v[2:5], v55 offset:256
	ds_read_b128 v[6:9], v55 offset:272
	ds_read2_b32 v[38:39], v10 offset0:16 offset1:20
	ds_read2_b32 v[40:41], v10 offset0:24 offset1:28
	;; [unrolled: 1-line block ×6, first 2 shown]
	ds_read_b128 v[10:13], v55 offset:288
	ds_read_b128 v[14:17], v55 offset:304
	s_ashr_i32 s37, s36, 31
	s_ashr_i32 s8, s43, 31
	;; [unrolled: 1-line block ×3, first 2 shown]
	s_cmp_eq_u64 s[22:23], 0
	s_waitcnt lgkmcnt(0)
	s_barrier
	s_cbranch_scc1 .LBB27_13
; %bb.12:
	s_load_dword s2, s[4:5], 0xd0
	s_mov_b32 s3, 0
	s_waitcnt lgkmcnt(0)
	s_mul_i32 s2, s2, s33
	s_add_i32 s2, s2, s6
	s_lshl_b64 s[2:3], s[2:3], 2
	s_add_u32 s2, s22, s2
	s_addc_u32 s3, s23, s3
	s_load_dword s38, s[2:3], 0x0
.LBB27_13:
	v_lshlrev_b32_e32 v19, 5, v1
	v_add_u32_e32 v52, v19, v0
	s_lshl_b32 s22, s7, 7
	s_mov_b32 s43, 0
	s_waitcnt lgkmcnt(0)
	s_cmp_ge_i32 s22, s38
	v_lshlrev_b32_e32 v54, 2, v0
	v_lshlrev_b32_e32 v53, 1, v52
	s_cbranch_scc1 .LBB27_41
; %bb.14:
	s_load_dwordx4 s[28:31], s[4:5], 0x98
	s_load_dwordx2 s[12:13], s[4:5], 0x8c
	s_load_dwordx2 s[2:3], s[4:5], 0xa8
	s_xor_b32 s8, s37, s8
	s_mul_i32 s40, s40, s39
	s_waitcnt lgkmcnt(0)
	s_mul_hi_u32 s9, s28, s33
	s_mul_i32 s11, s28, s10
	s_mul_i32 s23, s29, s33
	s_add_i32 s9, s9, s11
	s_add_i32 s9, s9, s23
	s_mul_i32 s23, s47, s44
	s_sub_i32 s23, s46, s23
	s_mul_i32 s11, s28, s33
	s_add_i32 s28, s47, 1
	s_sub_i32 s29, s23, s44
	s_cmp_ge_u32 s23, s44
	s_cselect_b32 s28, s28, s47
	s_cselect_b32 s23, s29, s23
	s_add_i32 s29, s28, 1
	s_cmp_ge_u32 s23, s44
	s_cselect_b32 s23, s29, s28
	s_xor_b32 s23, s23, s8
	s_sub_i32 s23, s23, s8
	s_mul_i32 s8, s23, s13
	s_ashr_i32 s13, s8, 31
	s_add_u32 s11, s14, s11
	s_addc_u32 s9, s15, s9
	s_add_u32 s11, s11, s8
	s_mul_hi_u32 s15, s2, s33
	s_mul_i32 s28, s2, s10
	s_addc_u32 s13, s9, s13
	s_add_i32 s15, s15, s28
	s_mul_i32 s3, s3, s33
	s_mul_i32 s23, s23, s31
	s_add_i32 s15, s15, s3
	s_mul_i32 s2, s2, s33
	s_ashr_i32 s3, s23, 31
	s_add_u32 s2, s16, s2
	s_addc_u32 s15, s17, s15
	s_add_u32 s16, s2, s23
	v_mul_lo_u32 v69, v19, s30
	s_addc_u32 s15, s15, s3
	s_sub_i32 s2, s42, s40
	s_sub_i32 s3, s2, s39
	s_cmp_ge_u32 s2, s39
	s_cselect_b32 s2, s3, s2
	v_add_u32_e32 v77, s30, v69
	s_sub_i32 s3, s2, s39
	v_add_u32_e32 v79, s30, v77
	s_cmp_ge_u32 s2, s39
	v_add_u32_e32 v81, s30, v79
	s_load_dwordx2 s[8:9], s[4:5], 0xc8
	s_load_dword s14, s[4:5], 0xd4
	s_cselect_b32 s2, s3, s2
	v_add_u32_e32 v83, s30, v81
	s_xor_b32 s2, s2, s10
	v_add_u32_e32 v85, s30, v83
	s_sub_i32 s2, s2, s10
	v_add_u32_e32 v87, s30, v85
	s_ashr_i32 s3, s2, 31
	v_add_u32_e32 v89, s30, v87
	s_waitcnt lgkmcnt(0)
	s_mul_i32 s3, s8, s3
	s_mul_hi_u32 s10, s8, s2
	v_add_u32_e32 v91, s30, v89
	s_add_i32 s3, s10, s3
	s_mul_i32 s9, s9, s2
	v_add_u32_e32 v93, s30, v91
	s_add_i32 s3, s3, s9
	s_mul_i32 s2, s8, s2
	v_add_u32_e32 v96, s30, v93
	s_add_u32 s2, s18, s2
	s_mul_i32 s8, s45, s6
	v_add_u32_e32 v98, s30, v96
	s_addc_u32 s3, s19, s3
	s_ashr_i32 s9, s8, 31
	v_add_u32_e32 v100, s30, v98
	s_add_u32 s8, s2, s8
	s_mov_b32 s23, s43
	v_mbcnt_hi_u32_b32 v22, -1, v50
	v_add_u32_e32 v102, s30, v100
	s_addc_u32 s9, s3, s9
	s_lshl_b64 s[2:3], s[22:23], 1
	v_and_b32_e32 v23, 0x7c, v22
	v_add_u32_e32 v104, s30, v102
	s_add_u32 s23, s8, s2
	v_add_u32_e32 v23, 4, v23
	v_xor_b32_e32 v24, 2, v22
	v_add_u32_e32 v106, s30, v104
	s_addc_u32 s28, s9, s3
	s_mul_i32 s2, s30, s22
	v_cmp_lt_i32_e32 vcc, v24, v23
	v_add_u32_e32 v108, s30, v106
	s_add_u32 s29, s16, s2
	v_cndmask_b32_e32 v24, v22, v24, vcc
	v_add_u32_e32 v110, s30, v108
	s_addc_u32 s31, s15, 0
	s_mul_i32 s2, s12, s22
	v_lshlrev_b32_e32 v57, 2, v24
	v_xor_b32_e32 v24, 1, v22
	v_add_u32_e32 v112, s30, v110
	s_add_u32 s39, s11, s2
	v_cmp_lt_i32_e32 vcc, v24, v23
	v_add_u32_e32 v114, s30, v112
	s_addc_u32 s40, s13, 0
	v_cndmask_b32_e32 v23, v22, v24, vcc
	v_add_u32_e32 v116, s30, v114
	v_lshlrev_b32_e32 v58, 2, v23
	s_cmp_lg_u64 s[18:19], 0
	v_and_b32_e32 v23, 0x60, v22
	v_add_u32_e32 v118, s30, v116
	s_cselect_b64 s[16:17], -1, 0
	v_add_u32_e32 v23, 32, v23
	s_lshl_b32 s42, s14, 7
	v_cmp_eq_u32_e64 s[2:3], 3, v18
	v_cmp_eq_u32_e64 s[14:15], 0, v18
	;; [unrolled: 1-line block ×4, first 2 shown]
	v_xor_b32_e32 v18, 4, v22
	v_add_u32_e32 v120, s30, v118
	v_and_b32_e32 v20, 0x7c, v0
	v_cmp_lt_i32_e32 vcc, v18, v23
	v_add_u32_e32 v122, s30, v120
	v_add_u32_e32 v21, v19, v20
	v_cndmask_b32_e32 v18, v22, v18, vcc
	v_add_u32_e32 v124, s30, v122
	v_mul_lo_u32 v59, v21, s12
	v_lshlrev_b32_e32 v67, 2, v18
	v_xor_b32_e32 v18, 8, v22
	v_add_u32_e32 v126, s30, v124
	v_cmp_lt_i32_e32 vcc, v18, v23
	v_add_u32_e32 v128, s30, v126
	v_cndmask_b32_e32 v18, v22, v18, vcc
	v_add_u32_e32 v130, s30, v128
	v_lshlrev_b32_e32 v68, 2, v18
	v_xor_b32_e32 v18, 16, v22
	v_add_u32_e32 v132, s30, v130
	v_add_u32_e32 v61, s12, v59
	v_cmp_lt_i32_e32 vcc, v18, v23
	v_add_u32_e32 v134, s30, v132
	v_add_u32_e32 v63, s12, v61
	v_cndmask_b32_e32 v18, v22, v18, vcc
	v_add_u32_e32 v136, s30, v134
	v_add_u32_e32 v65, s12, v63
	v_lshlrev_b32_e32 v70, 2, v18
	v_add_u32_e32 v18, 0x80, v54
	v_add_u32_e32 v138, s30, v136
	v_and_b32_e32 v56, 12, v54
	v_mov_b32_e32 v20, 0
	s_mul_i32 s44, s42, s12
	s_mul_i32 s45, s42, s30
	v_ashrrev_i32_e32 v60, 31, v59
	v_ashrrev_i32_e32 v62, 31, v61
	;; [unrolled: 1-line block ×4, first 2 shown]
	v_lshlrev_b32_e32 v71, 1, v19
	v_ashrrev_i32_e32 v72, 31, v69
	v_bfe_u32 v73, v0, 3, 27
	v_and_b32_e32 v74, 28, v54
	v_lshrrev_b32_e32 v75, 5, v18
	v_and_b32_e32 v76, 28, v18
	v_ashrrev_i32_e32 v78, 31, v77
	v_ashrrev_i32_e32 v80, 31, v79
	;; [unrolled: 1-line block ×9, first 2 shown]
	s_mov_b32 s46, 0x3f200000
	s_mov_b32 s47, 0x3fb8aa3b
	;; [unrolled: 1-line block ×4, first 2 shown]
	v_lshlrev_b32_e32 v95, 1, v21
	s_brev_b32 s50, -2
	s_mov_b32 s51, 0x10001
	v_ashrrev_i32_e32 v97, 31, v96
	v_ashrrev_i32_e32 v99, 31, v98
	;; [unrolled: 1-line block ×22, first 2 shown]
	v_mov_b32_e32 v24, 0xfeffffff
	v_mov_b32_e32 v140, 0xbd5c1c4e
	;; [unrolled: 1-line block ×9, first 2 shown]
                                        ; implicit-def: $vgpr144
.LBB27_15:                              ; =>This Inner Loop Header: Depth=1
	v_mov_b32_e32 v19, s40
	v_add_co_u32_e32 v18, vcc, s39, v59
	v_addc_co_u32_e32 v19, vcc, v19, v60, vcc
	v_add_co_u32_e32 v25, vcc, v18, v56
	v_addc_co_u32_e32 v26, vcc, 0, v19, vcc
	global_load_dword v27, v[25:26], off offset:2
	global_load_dword v28, v[25:26], off offset:20
	;; [unrolled: 1-line block ×7, first 2 shown]
	s_nop 0
	global_load_dword v25, v[25:26], off offset:128
	s_nop 0
	global_load_ushort v26, v[18:19], off
	global_load_ushort v145, v[18:19], off offset:18
	global_load_ushort v146, v[18:19], off offset:36
	;; [unrolled: 1-line block ×6, first 2 shown]
	s_nop 0
	global_load_ushort v18, v[18:19], off offset:126
	s_waitcnt vmcnt(15)
	v_and_b32_e32 v19, 0xf0f0f0f, v27
	v_lshrrev_b32_e32 v27, 4, v27
	v_dot4_i32_i8 v19, v19, v34, 0
	v_and_b32_e32 v27, 0xf0f0f0f, v27
	s_waitcnt vmcnt(14)
	v_and_b32_e32 v151, 0xf0f0f0f, v28
	v_lshrrev_b32_e32 v28, 4, v28
	v_cvt_f32_i32_e32 v19, v19
	v_dot4_i32_i8 v27, v27, v35, 0
	v_dot4_i32_i8 v151, v151, v36, 0
	v_and_b32_e32 v28, 0xf0f0f0f, v28
	v_cvt_f32_i32_e32 v27, v27
	s_waitcnt vmcnt(13)
	v_and_b32_e32 v152, 0xf0f0f0f, v29
	v_lshrrev_b32_e32 v29, 4, v29
	v_cvt_f32_i32_e32 v151, v151
	v_dot4_i32_i8 v28, v28, v37, 0
	v_dot4_i32_i8 v152, v152, v38, 0
	v_and_b32_e32 v29, 0xf0f0f0f, v29
	v_cvt_f32_i32_e32 v28, v28
	s_waitcnt vmcnt(12)
	v_and_b32_e32 v153, 0xf0f0f0f, v30
	v_lshrrev_b32_e32 v30, 4, v30
	v_cvt_f32_i32_e32 v152, v152
	v_dot4_i32_i8 v29, v29, v39, 0
	v_fma_f32 v19, v2, v19, -v3
	v_dot4_i32_i8 v153, v153, v40, 0
	v_and_b32_e32 v30, 0xf0f0f0f, v30
	v_cvt_f32_i32_e32 v29, v29
	s_waitcnt vmcnt(7)
	v_fma_mix_f32 v19, v19, v26, 0 op_sel_hi:[0,1,0]
	v_fma_f32 v27, v2, v27, -v3
	v_and_b32_e32 v154, 0xf0f0f0f, v31
	v_lshrrev_b32_e32 v31, 4, v31
	v_dot4_i32_i8 v30, v30, v41, 0
	v_cvt_f32_i32_e32 v153, v153
	v_fma_f32 v151, v4, v151, -v5
	v_fma_mix_f32 v19, v27, v26, v19 op_sel_hi:[0,1,0]
	v_dot4_i32_i8 v154, v154, v42, 0
	v_and_b32_e32 v31, 0xf0f0f0f, v31
	v_cvt_f32_i32_e32 v30, v30
	v_fma_f32 v28, v4, v28, -v5
	s_waitcnt vmcnt(6)
	v_fma_mix_f32 v19, v151, v145, v19 op_sel_hi:[0,1,0]
	v_and_b32_e32 v155, 0xf0f0f0f, v32
	v_lshrrev_b32_e32 v32, 4, v32
	v_dot4_i32_i8 v31, v31, v43, 0
	v_cvt_f32_i32_e32 v154, v154
	v_fma_f32 v152, v6, v152, -v7
	v_fma_mix_f32 v19, v28, v145, v19 op_sel_hi:[0,1,0]
	v_dot4_i32_i8 v155, v155, v44, 0
	v_and_b32_e32 v32, 0xf0f0f0f, v32
	v_cvt_f32_i32_e32 v31, v31
	v_fma_f32 v29, v6, v29, -v7
	s_waitcnt vmcnt(5)
	v_fma_mix_f32 v19, v152, v146, v19 op_sel_hi:[0,1,0]
	;; [unrolled: 12-line block ×3, first 2 shown]
	v_and_b32_e32 v157, 0xf0f0f0f, v25
	v_dot4_i32_i8 v33, v33, v47, 0
	v_cvt_f32_i32_e32 v156, v156
	v_fma_f32 v154, v10, v154, -v11
	v_fma_mix_f32 v19, v30, v147, v19 op_sel_hi:[0,1,0]
	v_lshrrev_b32_e32 v25, 4, v25
	v_dot4_i32_i8 v157, v157, v48, 0
	v_cvt_f32_i32_e32 v33, v33
	v_fma_f32 v31, v10, v31, -v11
	s_waitcnt vmcnt(3)
	v_fma_mix_f32 v19, v154, v148, v19 op_sel_hi:[0,1,0]
	v_and_b32_e32 v25, 0xf0f0f0f, v25
	v_fma_f32 v155, v12, v155, -v13
	v_fma_mix_f32 v19, v31, v148, v19 op_sel_hi:[0,1,0]
	v_dot4_i32_i8 v25, v25, v49, 0
	v_cvt_f32_i32_e32 v26, v157
	v_fma_f32 v32, v12, v32, -v13
	s_waitcnt vmcnt(2)
	v_fma_mix_f32 v19, v155, v149, v19 op_sel_hi:[0,1,0]
	v_cvt_f32_i32_e32 v25, v25
	v_fma_f32 v156, v14, v156, -v15
	v_fma_mix_f32 v19, v32, v149, v19 op_sel_hi:[0,1,0]
	v_fma_f32 v33, v14, v33, -v15
	s_waitcnt vmcnt(1)
	v_fma_mix_f32 v19, v156, v150, v19 op_sel_hi:[0,1,0]
	v_fma_mix_f32 v19, v33, v150, v19 op_sel_hi:[0,1,0]
	v_fma_f32 v26, v16, v26, -v17
	v_fma_f32 v25, v16, v25, -v17
	s_waitcnt vmcnt(0)
	v_fma_mix_f32 v19, v26, v18, v19 op_sel_hi:[0,1,0]
	v_fma_mix_f32 v18, v25, v18, v19 op_sel_hi:[0,1,0]
	ds_bpermute_b32 v19, v57, v18
                                        ; implicit-def: $vgpr26
	s_waitcnt lgkmcnt(0)
	v_add_f32_e32 v18, v18, v19
	ds_bpermute_b32 v19, v58, v18
	s_waitcnt lgkmcnt(0)
	v_add_f32_e32 v25, v18, v19
	v_cmp_nlt_f32_e64 s[12:13], |v25|, s46
	s_and_saveexec_b64 s[18:19], s[12:13]
	s_xor_b64 s[12:13], exec, s[18:19]
	s_cbranch_execz .LBB27_17
; %bb.16:                               ;   in Loop: Header=BB27_15 Depth=1
	v_add_f32_e64 v18, |v25|, |v25|
	v_mul_f32_e32 v19, 0x3fb8aa3b, v18
	v_rndne_f32_e32 v26, v19
	v_sub_f32_e32 v27, v19, v26
	v_fma_f32 v19, v18, s47, -v19
	v_fmac_f32_e32 v19, 0x32a5705f, v18
	v_add_f32_e32 v19, v27, v19
	v_cvt_i32_f32_e32 v26, v26
	v_exp_f32_e32 v19, v19
	v_cmp_ngt_f32_e32 vcc, s48, v18
	v_ldexp_f32 v19, v19, v26
	v_cndmask_b32_e32 v19, 0, v19, vcc
	v_cmp_nlt_f32_e32 vcc, s49, v18
	v_cndmask_b32_e32 v18, v143, v19, vcc
	v_add_f32_e32 v18, 1.0, v18
	v_rcp_f32_e32 v18, v18
	v_fma_f32 v26, v18, -2.0, 1.0
.LBB27_17:                              ;   in Loop: Header=BB27_15 Depth=1
	s_andn2_saveexec_b64 s[12:13], s[12:13]
; %bb.18:                               ;   in Loop: Header=BB27_15 Depth=1
	v_mul_f32_e32 v18, v25, v25
	v_mov_b32_e32 v19, 0x3ca908c9
	v_fmac_f32_e32 v19, 0xbbbac73d, v18
	v_fma_f32 v19, v18, v19, v140
	v_fma_f32 v19, v18, v19, v141
	;; [unrolled: 1-line block ×3, first 2 shown]
	v_mul_f32_e64 v19, |v25|, v19
	v_fma_f32 v26, v18, v19, |v25|
; %bb.19:                               ;   in Loop: Header=BB27_15 Depth=1
	s_or_b64 exec, exec, s[12:13]
	v_mov_b32_e32 v19, s28
	v_add_co_u32_e32 v18, vcc, s23, v95
	v_addc_co_u32_e32 v19, vcc, 0, v19, vcc
	v_bfi_b32 v25, s50, v26, v25
	v_cndmask_b32_e64 v26, 0, 1, s[16:17]
	v_cmp_ne_u32_e64 s[12:13], 1, v26
	s_andn2_b64 vcc, exec, s[16:17]
	v_mul_f32_e32 v25, s41, v25
	s_cbranch_vccnz .LBB27_21
; %bb.20:                               ;   in Loop: Header=BB27_15 Depth=1
	global_load_ushort v26, v[18:19], off
	s_waitcnt vmcnt(0)
	v_fma_mix_f32 v25, v51, v26, v25 op_sel_hi:[0,1,0]
.LBB27_21:                              ;   in Loop: Header=BB27_15 Depth=1
	v_mov_b32_e32 v27, s40
	v_add_co_u32_e32 v26, vcc, s39, v61
	v_addc_co_u32_e32 v27, vcc, v27, v62, vcc
	v_add_co_u32_e32 v28, vcc, v26, v56
	v_addc_co_u32_e32 v29, vcc, 0, v27, vcc
	global_load_dword v30, v[28:29], off offset:2
	global_load_dword v31, v[28:29], off offset:20
	;; [unrolled: 1-line block ×7, first 2 shown]
	s_nop 0
	global_load_dword v28, v[28:29], off offset:128
	s_nop 0
	global_load_ushort v29, v[26:27], off
	global_load_ushort v148, v[26:27], off offset:18
	global_load_ushort v149, v[26:27], off offset:36
	;; [unrolled: 1-line block ×6, first 2 shown]
	s_nop 0
	global_load_ushort v26, v[26:27], off offset:126
	s_waitcnt vmcnt(15)
	v_and_b32_e32 v27, 0xf0f0f0f, v30
	v_lshrrev_b32_e32 v30, 4, v30
	v_dot4_i32_i8 v27, v27, v34, 0
	v_and_b32_e32 v30, 0xf0f0f0f, v30
	s_waitcnt vmcnt(14)
	v_and_b32_e32 v154, 0xf0f0f0f, v31
	v_lshrrev_b32_e32 v31, 4, v31
	v_cvt_f32_i32_e32 v27, v27
	v_dot4_i32_i8 v30, v30, v35, 0
	v_dot4_i32_i8 v154, v154, v36, 0
	v_and_b32_e32 v31, 0xf0f0f0f, v31
	v_cvt_f32_i32_e32 v30, v30
	s_waitcnt vmcnt(13)
	v_and_b32_e32 v155, 0xf0f0f0f, v32
	v_lshrrev_b32_e32 v32, 4, v32
	v_cvt_f32_i32_e32 v154, v154
	v_dot4_i32_i8 v31, v31, v37, 0
	v_dot4_i32_i8 v155, v155, v38, 0
	v_and_b32_e32 v32, 0xf0f0f0f, v32
	v_cvt_f32_i32_e32 v31, v31
	s_waitcnt vmcnt(12)
	v_and_b32_e32 v156, 0xf0f0f0f, v33
	v_lshrrev_b32_e32 v33, 4, v33
	v_cvt_f32_i32_e32 v155, v155
	v_dot4_i32_i8 v32, v32, v39, 0
	v_fma_f32 v27, v2, v27, -v3
	v_dot4_i32_i8 v156, v156, v40, 0
	v_and_b32_e32 v33, 0xf0f0f0f, v33
	v_cvt_f32_i32_e32 v32, v32
	s_waitcnt vmcnt(7)
	v_fma_mix_f32 v27, v27, v29, 0 op_sel_hi:[0,1,0]
	v_fma_f32 v30, v2, v30, -v3
	v_and_b32_e32 v157, 0xf0f0f0f, v145
	v_lshrrev_b32_e32 v145, 4, v145
	v_dot4_i32_i8 v33, v33, v41, 0
	v_cvt_f32_i32_e32 v156, v156
	v_fma_f32 v154, v4, v154, -v5
	v_fma_mix_f32 v27, v30, v29, v27 op_sel_hi:[0,1,0]
	v_dot4_i32_i8 v157, v157, v42, 0
	v_and_b32_e32 v145, 0xf0f0f0f, v145
	v_cvt_f32_i32_e32 v33, v33
	v_fma_f32 v31, v4, v31, -v5
	s_waitcnt vmcnt(6)
	v_fma_mix_f32 v27, v154, v148, v27 op_sel_hi:[0,1,0]
	v_and_b32_e32 v158, 0xf0f0f0f, v146
	v_lshrrev_b32_e32 v146, 4, v146
	v_dot4_i32_i8 v145, v145, v43, 0
	v_cvt_f32_i32_e32 v157, v157
	v_fma_f32 v155, v6, v155, -v7
	v_fma_mix_f32 v27, v31, v148, v27 op_sel_hi:[0,1,0]
	v_dot4_i32_i8 v158, v158, v44, 0
	v_and_b32_e32 v146, 0xf0f0f0f, v146
	v_cvt_f32_i32_e32 v145, v145
	v_fma_f32 v32, v6, v32, -v7
	s_waitcnt vmcnt(5)
	v_fma_mix_f32 v27, v155, v149, v27 op_sel_hi:[0,1,0]
	;; [unrolled: 12-line block ×3, first 2 shown]
	v_and_b32_e32 v160, 0xf0f0f0f, v28
	v_dot4_i32_i8 v147, v147, v47, 0
	v_cvt_f32_i32_e32 v159, v159
	v_fma_f32 v157, v10, v157, -v11
	v_fma_mix_f32 v27, v33, v150, v27 op_sel_hi:[0,1,0]
	v_lshrrev_b32_e32 v28, 4, v28
	v_dot4_i32_i8 v160, v160, v48, 0
	v_cvt_f32_i32_e32 v147, v147
	v_fma_f32 v145, v10, v145, -v11
	s_waitcnt vmcnt(3)
	v_fma_mix_f32 v27, v157, v151, v27 op_sel_hi:[0,1,0]
	v_and_b32_e32 v28, 0xf0f0f0f, v28
	v_fma_f32 v158, v12, v158, -v13
	v_fma_mix_f32 v27, v145, v151, v27 op_sel_hi:[0,1,0]
	v_dot4_i32_i8 v28, v28, v49, 0
	v_cvt_f32_i32_e32 v29, v160
	v_fma_f32 v146, v12, v146, -v13
	s_waitcnt vmcnt(2)
	v_fma_mix_f32 v27, v158, v152, v27 op_sel_hi:[0,1,0]
	v_cvt_f32_i32_e32 v28, v28
	v_fma_f32 v159, v14, v159, -v15
	v_fma_mix_f32 v27, v146, v152, v27 op_sel_hi:[0,1,0]
	v_fma_f32 v147, v14, v147, -v15
	s_waitcnt vmcnt(1)
	v_fma_mix_f32 v27, v159, v153, v27 op_sel_hi:[0,1,0]
	v_fma_mix_f32 v27, v147, v153, v27 op_sel_hi:[0,1,0]
	v_fma_f32 v29, v16, v29, -v17
	v_fma_f32 v28, v16, v28, -v17
	s_waitcnt vmcnt(0)
	v_fma_mix_f32 v27, v29, v26, v27 op_sel_hi:[0,1,0]
	v_fma_mix_f32 v26, v28, v26, v27 op_sel_hi:[0,1,0]
	ds_bpermute_b32 v27, v57, v26
	s_waitcnt lgkmcnt(0)
	v_add_f32_e32 v26, v26, v27
	ds_bpermute_b32 v27, v58, v26
	s_waitcnt lgkmcnt(0)
	v_add_f32_e32 v26, v26, v27
	v_cmp_nlt_f32_e64 s[18:19], |v26|, s46
                                        ; implicit-def: $vgpr27
	s_and_saveexec_b64 s[52:53], s[18:19]
	s_xor_b64 s[18:19], exec, s[52:53]
	s_cbranch_execz .LBB27_23
; %bb.22:                               ;   in Loop: Header=BB27_15 Depth=1
	v_add_f32_e64 v27, |v26|, |v26|
	v_mul_f32_e32 v28, 0x3fb8aa3b, v27
	v_rndne_f32_e32 v29, v28
	v_sub_f32_e32 v30, v28, v29
	v_fma_f32 v28, v27, s47, -v28
	v_fmac_f32_e32 v28, 0x32a5705f, v27
	v_add_f32_e32 v28, v30, v28
	v_cvt_i32_f32_e32 v29, v29
	v_exp_f32_e32 v28, v28
	v_cmp_ngt_f32_e32 vcc, s48, v27
	v_ldexp_f32 v28, v28, v29
	v_cndmask_b32_e32 v28, 0, v28, vcc
	v_cmp_nlt_f32_e32 vcc, s49, v27
	v_cndmask_b32_e32 v27, v143, v28, vcc
	v_add_f32_e32 v27, 1.0, v27
	v_rcp_f32_e32 v27, v27
	v_fma_f32 v27, v27, -2.0, 1.0
.LBB27_23:                              ;   in Loop: Header=BB27_15 Depth=1
	s_andn2_saveexec_b64 s[18:19], s[18:19]
; %bb.24:                               ;   in Loop: Header=BB27_15 Depth=1
	v_mul_f32_e32 v27, v26, v26
	v_mov_b32_e32 v28, 0x3ca908c9
	v_fmac_f32_e32 v28, 0xbbbac73d, v27
	v_fma_f32 v28, v27, v28, v140
	v_fma_f32 v28, v27, v28, v141
	;; [unrolled: 1-line block ×3, first 2 shown]
	v_mul_f32_e64 v28, |v26|, v28
	v_fma_f32 v27, v27, v28, |v26|
; %bb.25:                               ;   in Loop: Header=BB27_15 Depth=1
	s_or_b64 exec, exec, s[18:19]
	v_bfi_b32 v26, s50, v27, v26
	s_and_b64 vcc, exec, s[12:13]
	v_mul_f32_e32 v26, s41, v26
	s_cbranch_vccnz .LBB27_27
; %bb.26:                               ;   in Loop: Header=BB27_15 Depth=1
	global_load_ushort v27, v[18:19], off offset:2
	s_waitcnt vmcnt(0)
	v_fma_mix_f32 v26, v51, v27, v26 op_sel_hi:[0,1,0]
.LBB27_27:                              ;   in Loop: Header=BB27_15 Depth=1
	v_mov_b32_e32 v28, s40
	v_add_co_u32_e32 v27, vcc, s39, v63
	v_addc_co_u32_e32 v28, vcc, v28, v64, vcc
	v_add_co_u32_e32 v29, vcc, v27, v56
	v_addc_co_u32_e32 v30, vcc, 0, v28, vcc
	global_load_dword v31, v[29:30], off offset:2
	global_load_dword v32, v[29:30], off offset:20
	;; [unrolled: 1-line block ×7, first 2 shown]
	s_nop 0
	global_load_dword v29, v[29:30], off offset:128
	s_nop 0
	global_load_ushort v30, v[27:28], off
	global_load_ushort v149, v[27:28], off offset:18
	global_load_ushort v150, v[27:28], off offset:36
	;; [unrolled: 1-line block ×6, first 2 shown]
	s_nop 0
	global_load_ushort v27, v[27:28], off offset:126
	s_waitcnt vmcnt(15)
	v_and_b32_e32 v28, 0xf0f0f0f, v31
	v_lshrrev_b32_e32 v31, 4, v31
	v_dot4_i32_i8 v28, v28, v34, 0
	v_and_b32_e32 v31, 0xf0f0f0f, v31
	s_waitcnt vmcnt(14)
	v_and_b32_e32 v155, 0xf0f0f0f, v32
	v_lshrrev_b32_e32 v32, 4, v32
	v_cvt_f32_i32_e32 v28, v28
	v_dot4_i32_i8 v31, v31, v35, 0
	v_dot4_i32_i8 v155, v155, v36, 0
	v_and_b32_e32 v32, 0xf0f0f0f, v32
	v_cvt_f32_i32_e32 v31, v31
	s_waitcnt vmcnt(13)
	v_and_b32_e32 v156, 0xf0f0f0f, v33
	v_lshrrev_b32_e32 v33, 4, v33
	v_cvt_f32_i32_e32 v155, v155
	v_dot4_i32_i8 v32, v32, v37, 0
	v_dot4_i32_i8 v156, v156, v38, 0
	v_and_b32_e32 v33, 0xf0f0f0f, v33
	v_cvt_f32_i32_e32 v32, v32
	s_waitcnt vmcnt(12)
	v_and_b32_e32 v157, 0xf0f0f0f, v145
	v_lshrrev_b32_e32 v145, 4, v145
	v_cvt_f32_i32_e32 v156, v156
	v_dot4_i32_i8 v33, v33, v39, 0
	v_fma_f32 v28, v2, v28, -v3
	v_dot4_i32_i8 v157, v157, v40, 0
	v_and_b32_e32 v145, 0xf0f0f0f, v145
	v_cvt_f32_i32_e32 v33, v33
	s_waitcnt vmcnt(7)
	v_fma_mix_f32 v28, v28, v30, 0 op_sel_hi:[0,1,0]
	v_fma_f32 v31, v2, v31, -v3
	v_and_b32_e32 v158, 0xf0f0f0f, v146
	v_lshrrev_b32_e32 v146, 4, v146
	v_dot4_i32_i8 v145, v145, v41, 0
	v_cvt_f32_i32_e32 v157, v157
	v_fma_f32 v155, v4, v155, -v5
	v_fma_mix_f32 v28, v31, v30, v28 op_sel_hi:[0,1,0]
	v_dot4_i32_i8 v158, v158, v42, 0
	v_and_b32_e32 v146, 0xf0f0f0f, v146
	v_cvt_f32_i32_e32 v145, v145
	v_fma_f32 v32, v4, v32, -v5
	s_waitcnt vmcnt(6)
	v_fma_mix_f32 v28, v155, v149, v28 op_sel_hi:[0,1,0]
	v_and_b32_e32 v159, 0xf0f0f0f, v147
	v_lshrrev_b32_e32 v147, 4, v147
	v_dot4_i32_i8 v146, v146, v43, 0
	v_cvt_f32_i32_e32 v158, v158
	v_fma_f32 v156, v6, v156, -v7
	v_fma_mix_f32 v28, v32, v149, v28 op_sel_hi:[0,1,0]
	v_dot4_i32_i8 v159, v159, v44, 0
	v_and_b32_e32 v147, 0xf0f0f0f, v147
	v_cvt_f32_i32_e32 v146, v146
	v_fma_f32 v33, v6, v33, -v7
	s_waitcnt vmcnt(5)
	v_fma_mix_f32 v28, v156, v150, v28 op_sel_hi:[0,1,0]
	;; [unrolled: 12-line block ×3, first 2 shown]
	v_and_b32_e32 v161, 0xf0f0f0f, v29
	v_dot4_i32_i8 v148, v148, v47, 0
	v_cvt_f32_i32_e32 v160, v160
	v_fma_f32 v158, v10, v158, -v11
	v_fma_mix_f32 v28, v145, v151, v28 op_sel_hi:[0,1,0]
	v_lshrrev_b32_e32 v29, 4, v29
	v_dot4_i32_i8 v161, v161, v48, 0
	v_cvt_f32_i32_e32 v148, v148
	v_fma_f32 v146, v10, v146, -v11
	s_waitcnt vmcnt(3)
	v_fma_mix_f32 v28, v158, v152, v28 op_sel_hi:[0,1,0]
	v_and_b32_e32 v29, 0xf0f0f0f, v29
	v_fma_f32 v159, v12, v159, -v13
	v_fma_mix_f32 v28, v146, v152, v28 op_sel_hi:[0,1,0]
	v_dot4_i32_i8 v29, v29, v49, 0
	v_cvt_f32_i32_e32 v30, v161
	v_fma_f32 v147, v12, v147, -v13
	s_waitcnt vmcnt(2)
	v_fma_mix_f32 v28, v159, v153, v28 op_sel_hi:[0,1,0]
	v_cvt_f32_i32_e32 v29, v29
	v_fma_f32 v160, v14, v160, -v15
	v_fma_mix_f32 v28, v147, v153, v28 op_sel_hi:[0,1,0]
	v_fma_f32 v148, v14, v148, -v15
	s_waitcnt vmcnt(1)
	v_fma_mix_f32 v28, v160, v154, v28 op_sel_hi:[0,1,0]
	v_fma_mix_f32 v28, v148, v154, v28 op_sel_hi:[0,1,0]
	v_fma_f32 v30, v16, v30, -v17
	v_fma_f32 v29, v16, v29, -v17
	s_waitcnt vmcnt(0)
	v_fma_mix_f32 v28, v30, v27, v28 op_sel_hi:[0,1,0]
	v_fma_mix_f32 v27, v29, v27, v28 op_sel_hi:[0,1,0]
	ds_bpermute_b32 v28, v57, v27
	s_waitcnt lgkmcnt(0)
	v_add_f32_e32 v27, v27, v28
	ds_bpermute_b32 v28, v58, v27
	s_waitcnt lgkmcnt(0)
	v_add_f32_e32 v27, v27, v28
	v_cmp_nlt_f32_e64 s[18:19], |v27|, s46
                                        ; implicit-def: $vgpr28
	s_and_saveexec_b64 s[52:53], s[18:19]
	s_xor_b64 s[18:19], exec, s[52:53]
	s_cbranch_execz .LBB27_29
; %bb.28:                               ;   in Loop: Header=BB27_15 Depth=1
	v_add_f32_e64 v28, |v27|, |v27|
	v_mul_f32_e32 v29, 0x3fb8aa3b, v28
	v_rndne_f32_e32 v30, v29
	v_sub_f32_e32 v31, v29, v30
	v_fma_f32 v29, v28, s47, -v29
	v_fmac_f32_e32 v29, 0x32a5705f, v28
	v_add_f32_e32 v29, v31, v29
	v_cvt_i32_f32_e32 v30, v30
	v_exp_f32_e32 v29, v29
	v_cmp_ngt_f32_e32 vcc, s48, v28
	v_ldexp_f32 v29, v29, v30
	v_cndmask_b32_e32 v29, 0, v29, vcc
	v_cmp_nlt_f32_e32 vcc, s49, v28
	v_cndmask_b32_e32 v28, v143, v29, vcc
	v_add_f32_e32 v28, 1.0, v28
	v_rcp_f32_e32 v28, v28
	v_fma_f32 v28, v28, -2.0, 1.0
.LBB27_29:                              ;   in Loop: Header=BB27_15 Depth=1
	s_andn2_saveexec_b64 s[18:19], s[18:19]
; %bb.30:                               ;   in Loop: Header=BB27_15 Depth=1
	v_mul_f32_e32 v28, v27, v27
	v_mov_b32_e32 v29, 0x3ca908c9
	v_fmac_f32_e32 v29, 0xbbbac73d, v28
	v_fma_f32 v29, v28, v29, v140
	v_fma_f32 v29, v28, v29, v141
	;; [unrolled: 1-line block ×3, first 2 shown]
	v_mul_f32_e64 v29, |v27|, v29
	v_fma_f32 v28, v28, v29, |v27|
; %bb.31:                               ;   in Loop: Header=BB27_15 Depth=1
	s_or_b64 exec, exec, s[18:19]
	v_bfi_b32 v27, s50, v28, v27
	s_and_b64 vcc, exec, s[12:13]
	v_mul_f32_e32 v27, s41, v27
	s_cbranch_vccnz .LBB27_33
; %bb.32:                               ;   in Loop: Header=BB27_15 Depth=1
	global_load_ushort v28, v[18:19], off offset:4
	s_waitcnt vmcnt(0)
	v_fma_mix_f32 v27, v51, v28, v27 op_sel_hi:[0,1,0]
.LBB27_33:                              ;   in Loop: Header=BB27_15 Depth=1
	v_mov_b32_e32 v29, s40
	v_add_co_u32_e32 v28, vcc, s39, v65
	v_addc_co_u32_e32 v29, vcc, v29, v66, vcc
	v_add_co_u32_e32 v30, vcc, v28, v56
	v_addc_co_u32_e32 v31, vcc, 0, v29, vcc
	global_load_dword v32, v[30:31], off offset:2
	global_load_dword v33, v[30:31], off offset:20
	;; [unrolled: 1-line block ×7, first 2 shown]
	s_nop 0
	global_load_dword v30, v[30:31], off offset:128
	s_nop 0
	global_load_ushort v31, v[28:29], off
	global_load_ushort v150, v[28:29], off offset:18
	global_load_ushort v151, v[28:29], off offset:36
	;; [unrolled: 1-line block ×6, first 2 shown]
	s_nop 0
	global_load_ushort v28, v[28:29], off offset:126
	s_waitcnt vmcnt(15)
	v_and_b32_e32 v29, 0xf0f0f0f, v32
	v_lshrrev_b32_e32 v32, 4, v32
	v_dot4_i32_i8 v29, v29, v34, 0
	v_and_b32_e32 v32, 0xf0f0f0f, v32
	s_waitcnt vmcnt(14)
	v_and_b32_e32 v156, 0xf0f0f0f, v33
	v_lshrrev_b32_e32 v33, 4, v33
	v_cvt_f32_i32_e32 v29, v29
	v_dot4_i32_i8 v32, v32, v35, 0
	v_dot4_i32_i8 v156, v156, v36, 0
	v_and_b32_e32 v33, 0xf0f0f0f, v33
	v_cvt_f32_i32_e32 v32, v32
	s_waitcnt vmcnt(13)
	v_and_b32_e32 v157, 0xf0f0f0f, v145
	v_lshrrev_b32_e32 v145, 4, v145
	v_cvt_f32_i32_e32 v156, v156
	v_dot4_i32_i8 v33, v33, v37, 0
	v_dot4_i32_i8 v157, v157, v38, 0
	v_and_b32_e32 v145, 0xf0f0f0f, v145
	v_cvt_f32_i32_e32 v33, v33
	s_waitcnt vmcnt(12)
	v_and_b32_e32 v158, 0xf0f0f0f, v146
	v_lshrrev_b32_e32 v146, 4, v146
	v_cvt_f32_i32_e32 v157, v157
	v_dot4_i32_i8 v145, v145, v39, 0
	v_fma_f32 v29, v2, v29, -v3
	v_dot4_i32_i8 v158, v158, v40, 0
	v_and_b32_e32 v146, 0xf0f0f0f, v146
	v_cvt_f32_i32_e32 v145, v145
	s_waitcnt vmcnt(7)
	v_fma_mix_f32 v29, v29, v31, 0 op_sel_hi:[0,1,0]
	v_fma_f32 v32, v2, v32, -v3
	v_and_b32_e32 v159, 0xf0f0f0f, v147
	v_lshrrev_b32_e32 v147, 4, v147
	v_dot4_i32_i8 v146, v146, v41, 0
	v_cvt_f32_i32_e32 v158, v158
	v_fma_f32 v156, v4, v156, -v5
	v_fma_mix_f32 v29, v32, v31, v29 op_sel_hi:[0,1,0]
	v_dot4_i32_i8 v159, v159, v42, 0
	v_and_b32_e32 v147, 0xf0f0f0f, v147
	v_cvt_f32_i32_e32 v146, v146
	v_fma_f32 v33, v4, v33, -v5
	s_waitcnt vmcnt(6)
	v_fma_mix_f32 v29, v156, v150, v29 op_sel_hi:[0,1,0]
	v_and_b32_e32 v160, 0xf0f0f0f, v148
	v_lshrrev_b32_e32 v148, 4, v148
	v_dot4_i32_i8 v147, v147, v43, 0
	v_cvt_f32_i32_e32 v159, v159
	v_fma_f32 v157, v6, v157, -v7
	v_fma_mix_f32 v29, v33, v150, v29 op_sel_hi:[0,1,0]
	v_dot4_i32_i8 v160, v160, v44, 0
	v_and_b32_e32 v148, 0xf0f0f0f, v148
	v_cvt_f32_i32_e32 v147, v147
	v_fma_f32 v145, v6, v145, -v7
	s_waitcnt vmcnt(5)
	v_fma_mix_f32 v29, v157, v151, v29 op_sel_hi:[0,1,0]
	;; [unrolled: 12-line block ×3, first 2 shown]
	v_and_b32_e32 v162, 0xf0f0f0f, v30
	v_dot4_i32_i8 v149, v149, v47, 0
	v_cvt_f32_i32_e32 v161, v161
	v_fma_f32 v159, v10, v159, -v11
	v_fma_mix_f32 v29, v146, v152, v29 op_sel_hi:[0,1,0]
	v_lshrrev_b32_e32 v30, 4, v30
	v_dot4_i32_i8 v162, v162, v48, 0
	v_cvt_f32_i32_e32 v149, v149
	v_fma_f32 v147, v10, v147, -v11
	s_waitcnt vmcnt(3)
	v_fma_mix_f32 v29, v159, v153, v29 op_sel_hi:[0,1,0]
	v_and_b32_e32 v30, 0xf0f0f0f, v30
	v_fma_f32 v160, v12, v160, -v13
	v_fma_mix_f32 v29, v147, v153, v29 op_sel_hi:[0,1,0]
	v_dot4_i32_i8 v30, v30, v49, 0
	v_cvt_f32_i32_e32 v31, v162
	v_fma_f32 v148, v12, v148, -v13
	s_waitcnt vmcnt(2)
	v_fma_mix_f32 v29, v160, v154, v29 op_sel_hi:[0,1,0]
	v_cvt_f32_i32_e32 v30, v30
	v_fma_f32 v161, v14, v161, -v15
	v_fma_mix_f32 v29, v148, v154, v29 op_sel_hi:[0,1,0]
	v_fma_f32 v149, v14, v149, -v15
	s_waitcnt vmcnt(1)
	v_fma_mix_f32 v29, v161, v155, v29 op_sel_hi:[0,1,0]
	v_fma_mix_f32 v29, v149, v155, v29 op_sel_hi:[0,1,0]
	v_fma_f32 v31, v16, v31, -v17
	v_fma_f32 v30, v16, v30, -v17
	s_waitcnt vmcnt(0)
	v_fma_mix_f32 v29, v31, v28, v29 op_sel_hi:[0,1,0]
	v_fma_mix_f32 v28, v30, v28, v29 op_sel_hi:[0,1,0]
	ds_bpermute_b32 v29, v57, v28
	s_waitcnt lgkmcnt(0)
	v_add_f32_e32 v28, v28, v29
	ds_bpermute_b32 v29, v58, v28
	s_waitcnt lgkmcnt(0)
	v_add_f32_e32 v28, v28, v29
	v_cmp_nlt_f32_e64 s[18:19], |v28|, s46
                                        ; implicit-def: $vgpr29
	s_and_saveexec_b64 s[52:53], s[18:19]
	s_xor_b64 s[18:19], exec, s[52:53]
	s_cbranch_execz .LBB27_35
; %bb.34:                               ;   in Loop: Header=BB27_15 Depth=1
	v_add_f32_e64 v29, |v28|, |v28|
	v_mul_f32_e32 v30, 0x3fb8aa3b, v29
	v_rndne_f32_e32 v31, v30
	v_sub_f32_e32 v32, v30, v31
	v_fma_f32 v30, v29, s47, -v30
	v_fmac_f32_e32 v30, 0x32a5705f, v29
	v_add_f32_e32 v30, v32, v30
	v_cvt_i32_f32_e32 v31, v31
	v_exp_f32_e32 v30, v30
	v_cmp_ngt_f32_e32 vcc, s48, v29
	v_ldexp_f32 v30, v30, v31
	v_cndmask_b32_e32 v30, 0, v30, vcc
	v_cmp_nlt_f32_e32 vcc, s49, v29
	v_cndmask_b32_e32 v29, v143, v30, vcc
	v_add_f32_e32 v29, 1.0, v29
	v_rcp_f32_e32 v29, v29
	v_fma_f32 v29, v29, -2.0, 1.0
.LBB27_35:                              ;   in Loop: Header=BB27_15 Depth=1
	s_andn2_saveexec_b64 s[18:19], s[18:19]
; %bb.36:                               ;   in Loop: Header=BB27_15 Depth=1
	v_mul_f32_e32 v29, v28, v28
	v_mov_b32_e32 v30, 0x3ca908c9
	v_fmac_f32_e32 v30, 0xbbbac73d, v29
	v_fma_f32 v30, v29, v30, v140
	v_fma_f32 v30, v29, v30, v141
	;; [unrolled: 1-line block ×3, first 2 shown]
	v_mul_f32_e64 v30, |v28|, v30
	v_fma_f32 v29, v29, v30, |v28|
; %bb.37:                               ;   in Loop: Header=BB27_15 Depth=1
	s_or_b64 exec, exec, s[18:19]
	v_bfi_b32 v28, s50, v29, v28
	s_and_b64 vcc, exec, s[12:13]
	v_mul_f32_e32 v28, s41, v28
	s_cbranch_vccnz .LBB27_39
; %bb.38:                               ;   in Loop: Header=BB27_15 Depth=1
	global_load_ushort v18, v[18:19], off offset:6
	s_waitcnt vmcnt(0)
	v_fma_mix_f32 v28, v51, v18, v28 op_sel_hi:[0,1,0]
.LBB27_39:                              ;   in Loop: Header=BB27_15 Depth=1
	v_add_f32_e32 v18, 0x40051340, v25
	v_add_f32_e32 v19, 0x40051340, v26
	v_max3_f32 v18, v24, v18, v19
	v_add_f32_e32 v19, 0x40051340, v27
	v_add_f32_e32 v29, 0x40051340, v28
	v_max3_f32 v18, v18, v19, v29
	ds_bpermute_b32 v19, v67, v18
	v_mov_b32_e32 v147, s31
	v_add_co_u32_e32 v30, vcc, s29, v69
	v_mul_u32_u24_e32 v148, 34, v73
	s_waitcnt lgkmcnt(0)
	v_max_f32_e32 v19, v19, v19
	v_max_f32_e32 v18, v18, v19
	ds_bpermute_b32 v19, v68, v18
	v_addc_co_u32_e32 v31, vcc, v147, v72, vcc
	v_mul_hi_u32_u24_e32 v146, 34, v73
	v_cndmask_b32_e64 v29, v144, v25, s[14:15]
	s_waitcnt lgkmcnt(0)
	v_max_f32_e32 v19, v19, v19
	v_max_f32_e32 v18, v18, v19
	ds_bpermute_b32 v19, v70, v18
	v_mul_u32_u24_e32 v150, 34, v75
	v_mul_hi_u32_u24_e32 v149, 34, v75
	s_add_i32 s22, s42, s22
	s_add_u32 s39, s39, s44
	s_waitcnt lgkmcnt(0)
	v_max_f32_e32 v19, v19, v19
	v_max_f32_e32 v145, v18, v19
	v_add_co_u32_e32 v18, vcc, v30, v148
	v_addc_co_u32_e32 v19, vcc, v31, v146, vcc
	v_sub_f32_e32 v32, v24, v145
	v_add_co_u32_e32 v24, vcc, v18, v74
	v_addc_co_u32_e32 v25, vcc, 0, v19, vcc
	global_load_ushort v151, v[18:19], off
	global_load_dword v152, v[24:25], off offset:2
	v_add_co_u32_e32 v18, vcc, v30, v150
	v_addc_co_u32_e32 v19, vcc, v31, v149, vcc
	v_add_co_u32_e32 v24, vcc, v18, v76
	v_addc_co_u32_e32 v25, vcc, 0, v19, vcc
	global_load_ushort v154, v[18:19], off
	global_load_dword v155, v[24:25], off offset:2
	v_mul_f32_e32 v33, 0x3fb8aa3b, v32
	v_fma_f32 v144, v32, s47, -v33
	v_rndne_f32_e32 v153, v33
	v_fmac_f32_e32 v144, 0x32a5705f, v32
	v_sub_f32_e32 v33, v33, v153
	v_add_f32_e32 v18, v33, v144
	v_exp_f32_e32 v18, v18
	v_cvt_i32_f32_e32 v19, v153
	v_cndmask_b32_e64 v24, v29, v26, s[8:9]
	v_cndmask_b32_e64 v24, v24, v27, s[10:11]
	;; [unrolled: 1-line block ×3, first 2 shown]
	v_ldexp_f32 v18, v18, v19
	v_sub_f32_e32 v19, v24, v145
	v_mul_f32_e32 v24, 0x3fb8aa3b, v19
	v_fma_f32 v25, v19, s47, -v24
	v_rndne_f32_e32 v26, v24
	v_fmac_f32_e32 v25, 0x32a5705f, v19
	v_sub_f32_e32 v24, v24, v26
	v_add_f32_e32 v24, v24, v25
	v_exp_f32_e32 v24, v24
	v_cvt_i32_f32_e32 v25, v26
	v_cmp_ngt_f32_e32 vcc, s48, v32
	v_cndmask_b32_e32 v18, 0, v18, vcc
	v_cmp_nlt_f32_e32 vcc, s49, v32
	v_cndmask_b32_e32 v26, v143, v18, vcc
	v_ldexp_f32 v18, v24, v25
	v_cmp_ngt_f32_e32 vcc, s48, v19
	v_cndmask_b32_e32 v18, 0, v18, vcc
	v_cmp_nlt_f32_e32 vcc, s49, v19
	v_cndmask_b32_e32 v144, v143, v18, vcc
	v_add_co_u32_e32 v28, vcc, s29, v77
	v_addc_co_u32_e32 v29, vcc, v147, v78, vcc
	v_add_co_u32_e32 v18, vcc, v28, v148
	v_addc_co_u32_e32 v19, vcc, v29, v146, vcc
	;; [unrolled: 2-line block ×3, first 2 shown]
	global_load_ushort v156, v[18:19], off
	global_load_dword v157, v[24:25], off offset:2
	v_cvt_f16_f32_e32 v27, v26
	v_cvt_f16_f32_e32 v25, v144
	v_add_co_u32_e32 v18, vcc, v28, v150
	v_mul_u32_u24_e32 v24, 0x10001, v27
	v_addc_co_u32_e32 v19, vcc, v29, v149, vcc
	v_pk_mul_f16 v153, v22, v24
	v_add_co_u32_e32 v22, vcc, v18, v76
	v_pk_mul_f16 v158, v23, v24
	v_addc_co_u32_e32 v23, vcc, 0, v19, vcc
	global_load_ushort v159, v[18:19], off
	global_load_dword v160, v[22:23], off offset:2
	ds_write_b16 v53, v25
	ds_read_b128 v[30:33], v71
	v_add_co_u32_e32 v168, vcc, s29, v79
	v_addc_co_u32_e32 v169, vcc, v147, v80, vcc
	s_waitcnt lgkmcnt(0)
	v_mul_u32_u24_sdwa v163, v30, s51 dst_sel:DWORD dst_unused:UNUSED_PAD src0_sel:WORD_0 src1_sel:DWORD
	v_fma_f32 v55, v55, v26, v144
	v_pk_mul_f16 v161, v21, v24
	v_pk_mul_f16 v162, v20, v24
	ds_read_b128 v[26:29], v71 offset:16
	ds_read_b128 v[22:25], v71 offset:32
	;; [unrolled: 1-line block ×3, first 2 shown]
	v_mul_u32_u24_sdwa v30, v30, s51 dst_sel:DWORD dst_unused:UNUSED_PAD src0_sel:WORD_1 src1_sel:DWORD
	s_waitcnt vmcnt(7)
	v_mul_u32_u24_e32 v151, 0x10001, v151
	s_waitcnt vmcnt(6)
	v_pk_lshrrev_b16 v164, 8, v152 op_sel:[1,0] op_sel_hi:[0,0]
	v_lshrrev_b32_e32 v165, 16, v164
	v_cvt_f16_i16_sdwa v164, sext(v164) dst_sel:DWORD dst_unused:UNUSED_PAD src0_sel:BYTE_0
	v_cvt_f16_i16_sdwa v165, sext(v165) dst_sel:DWORD dst_unused:UNUSED_PAD src0_sel:BYTE_0
	v_pk_lshrrev_b16 v152, 8, v152 op_sel:[1,1] op_sel_hi:[0,1]
	v_pack_b32_f16 v164, v164, v165
	v_lshrrev_b32_e32 v165, 16, v152
	v_cvt_f16_i16_sdwa v152, sext(v152) dst_sel:DWORD dst_unused:UNUSED_PAD src0_sel:BYTE_0
	v_cvt_f16_i16_sdwa v165, sext(v165) dst_sel:DWORD dst_unused:UNUSED_PAD src0_sel:BYTE_0
	v_pack_b32_f16 v152, v152, v165
	v_pk_mul_f16 v164, v164, v151
	v_pk_mul_f16 v151, v152, v151
	v_pk_fma_f16 v158, v151, v163, v158
	v_add_co_u32_e32 v151, vcc, v168, v148
	v_addc_co_u32_e32 v152, vcc, v169, v146, vcc
	v_pk_fma_f16 v164, v164, v163, v153
	v_add_co_u32_e32 v153, vcc, v151, v74
	s_waitcnt vmcnt(5)
	v_mul_u32_u24_e32 v165, 0x10001, v154
	v_addc_co_u32_e32 v154, vcc, 0, v152, vcc
	global_load_ushort v170, v[151:152], off
	global_load_dword v171, v[153:154], off offset:2
	s_waitcnt vmcnt(6)
	v_pk_lshrrev_b16 v166, 8, v155 op_sel:[1,0] op_sel_hi:[0,0]
	v_lshrrev_b32_e32 v167, 16, v166
	v_cvt_f16_i16_sdwa v151, sext(v166) dst_sel:DWORD dst_unused:UNUSED_PAD src0_sel:BYTE_0
	v_cvt_f16_i16_sdwa v152, sext(v167) dst_sel:DWORD dst_unused:UNUSED_PAD src0_sel:BYTE_0
	v_pack_b32_f16 v151, v151, v152
	v_pk_mul_f16 v166, v151, v165
	v_add_co_u32_e32 v151, vcc, v168, v150
	v_addc_co_u32_e32 v152, vcc, v169, v149, vcc
	v_add_co_u32_e32 v153, vcc, v151, v76
	v_addc_co_u32_e32 v154, vcc, 0, v152, vcc
	global_load_ushort v167, v[151:152], off
	global_load_dword v168, v[153:154], off offset:2
	v_pk_lshrrev_b16 v155, 8, v155 op_sel:[1,1] op_sel_hi:[0,1]
	v_lshrrev_b32_e32 v151, 16, v155
	v_cvt_f16_i16_sdwa v152, sext(v155) dst_sel:DWORD dst_unused:UNUSED_PAD src0_sel:BYTE_0
	v_cvt_f16_i16_sdwa v151, sext(v151) dst_sel:DWORD dst_unused:UNUSED_PAD src0_sel:BYTE_0
	v_pack_b32_f16 v151, v152, v151
	v_pk_mul_f16 v151, v151, v165
	v_pk_fma_f16 v155, v166, v163, v161
	v_pk_fma_f16 v161, v151, v163, v162
	v_add_co_u32_e32 v163, vcc, s29, v81
	s_addc_u32 s40, s40, 0
	s_waitcnt vmcnt(7)
	v_mul_u32_u24_e32 v151, 0x10001, v156
	s_waitcnt vmcnt(6)
	v_pk_lshrrev_b16 v152, 8, v157 op_sel:[1,0] op_sel_hi:[0,0]
	v_lshrrev_b32_e32 v153, 16, v152
	v_cvt_f16_i16_sdwa v152, sext(v152) dst_sel:DWORD dst_unused:UNUSED_PAD src0_sel:BYTE_0
	v_cvt_f16_i16_sdwa v153, sext(v153) dst_sel:DWORD dst_unused:UNUSED_PAD src0_sel:BYTE_0
	v_pack_b32_f16 v152, v152, v153
	v_pk_lshrrev_b16 v153, 8, v157 op_sel:[1,1] op_sel_hi:[0,1]
	v_lshrrev_b32_e32 v154, 16, v153
	v_cvt_f16_i16_sdwa v153, sext(v153) dst_sel:DWORD dst_unused:UNUSED_PAD src0_sel:BYTE_0
	v_cvt_f16_i16_sdwa v154, sext(v154) dst_sel:DWORD dst_unused:UNUSED_PAD src0_sel:BYTE_0
	v_pk_mul_f16 v152, v152, v151
	v_pack_b32_f16 v153, v153, v154
	v_pk_mul_f16 v151, v153, v151
	v_pk_fma_f16 v156, v152, v30, v164
	v_addc_co_u32_e32 v164, vcc, v147, v82, vcc
	v_pk_fma_f16 v157, v151, v30, v158
	v_add_co_u32_e32 v151, vcc, v163, v148
	v_addc_co_u32_e32 v152, vcc, v164, v146, vcc
	v_add_co_u32_e32 v153, vcc, v151, v74
	s_waitcnt vmcnt(5)
	v_mul_u32_u24_e32 v158, 0x10001, v159
	s_waitcnt vmcnt(4)
	v_pk_lshrrev_b16 v159, 8, v160 op_sel:[1,0] op_sel_hi:[0,0]
	v_addc_co_u32_e32 v154, vcc, 0, v152, vcc
	global_load_ushort v165, v[151:152], off
	global_load_dword v166, v[153:154], off offset:2
	v_lshrrev_b32_e32 v162, 16, v159
	v_cvt_f16_i16_sdwa v151, sext(v159) dst_sel:DWORD dst_unused:UNUSED_PAD src0_sel:BYTE_0
	v_cvt_f16_i16_sdwa v152, sext(v162) dst_sel:DWORD dst_unused:UNUSED_PAD src0_sel:BYTE_0
	v_pack_b32_f16 v151, v151, v152
	v_pk_mul_f16 v159, v151, v158
	v_add_co_u32_e32 v151, vcc, v163, v150
	v_addc_co_u32_e32 v152, vcc, v164, v149, vcc
	v_add_co_u32_e32 v153, vcc, v151, v76
	v_addc_co_u32_e32 v154, vcc, 0, v152, vcc
	global_load_ushort v162, v[151:152], off
	global_load_dword v163, v[153:154], off offset:2
	v_pk_lshrrev_b16 v160, 8, v160 op_sel:[1,1] op_sel_hi:[0,1]
	v_lshrrev_b32_e32 v151, 16, v160
	v_cvt_f16_i16_sdwa v152, sext(v160) dst_sel:DWORD dst_unused:UNUSED_PAD src0_sel:BYTE_0
	v_cvt_f16_i16_sdwa v151, sext(v151) dst_sel:DWORD dst_unused:UNUSED_PAD src0_sel:BYTE_0
	v_pack_b32_f16 v151, v152, v151
	v_pk_mul_f16 v151, v151, v158
	v_pk_fma_f16 v155, v159, v30, v155
	v_pk_fma_f16 v30, v151, v30, v161
	v_add_co_u32_e32 v164, vcc, s29, v83
	s_waitcnt vmcnt(6)
	v_pk_lshrrev_b16 v152, 8, v171 op_sel:[1,0] op_sel_hi:[0,0]
	v_lshrrev_b32_e32 v153, 16, v152
	v_cvt_f16_i16_sdwa v152, sext(v152) dst_sel:DWORD dst_unused:UNUSED_PAD src0_sel:BYTE_0
	v_cvt_f16_i16_sdwa v153, sext(v153) dst_sel:DWORD dst_unused:UNUSED_PAD src0_sel:BYTE_0
	v_pack_b32_f16 v152, v152, v153
	v_pk_lshrrev_b16 v153, 8, v171 op_sel:[1,1] op_sel_hi:[0,1]
	v_lshrrev_b32_e32 v154, 16, v153
	v_cvt_f16_i16_sdwa v153, sext(v153) dst_sel:DWORD dst_unused:UNUSED_PAD src0_sel:BYTE_0
	v_cvt_f16_i16_sdwa v154, sext(v154) dst_sel:DWORD dst_unused:UNUSED_PAD src0_sel:BYTE_0
	v_mul_u32_u24_e32 v151, 0x10001, v170
	v_pack_b32_f16 v153, v153, v154
	v_mul_u32_u24_sdwa v158, v31, s51 dst_sel:DWORD dst_unused:UNUSED_PAD src0_sel:WORD_0 src1_sel:DWORD
	v_pk_mul_f16 v152, v152, v151
	v_pk_mul_f16 v151, v153, v151
	s_waitcnt vmcnt(5)
	v_mul_u32_u24_e32 v159, 0x10001, v167
	v_addc_co_u32_e32 v167, vcc, v147, v84, vcc
	v_pk_fma_f16 v157, v151, v158, v157
	v_add_co_u32_e32 v151, vcc, v164, v148
	v_pk_fma_f16 v156, v152, v158, v156
	v_addc_co_u32_e32 v152, vcc, v167, v146, vcc
	v_add_co_u32_e32 v153, vcc, v151, v74
	s_waitcnt vmcnt(4)
	v_pk_lshrrev_b16 v160, 8, v168 op_sel:[1,0] op_sel_hi:[0,0]
	v_addc_co_u32_e32 v154, vcc, 0, v152, vcc
	global_load_ushort v169, v[151:152], off
	global_load_dword v170, v[153:154], off offset:2
	v_lshrrev_b32_e32 v161, 16, v160
	v_cvt_f16_i16_sdwa v151, sext(v160) dst_sel:DWORD dst_unused:UNUSED_PAD src0_sel:BYTE_0
	v_cvt_f16_i16_sdwa v152, sext(v161) dst_sel:DWORD dst_unused:UNUSED_PAD src0_sel:BYTE_0
	v_pack_b32_f16 v151, v151, v152
	v_pk_mul_f16 v160, v151, v159
	v_add_co_u32_e32 v151, vcc, v164, v150
	v_addc_co_u32_e32 v152, vcc, v167, v149, vcc
	v_add_co_u32_e32 v153, vcc, v151, v76
	v_addc_co_u32_e32 v154, vcc, 0, v152, vcc
	global_load_ushort v164, v[151:152], off
	s_nop 0
	global_load_dword v153, v[153:154], off offset:2
	v_pk_lshrrev_b16 v161, 8, v168 op_sel:[1,1] op_sel_hi:[0,1]
	v_lshrrev_b32_e32 v151, 16, v161
	v_cvt_f16_i16_sdwa v152, sext(v161) dst_sel:DWORD dst_unused:UNUSED_PAD src0_sel:BYTE_0
	v_cvt_f16_i16_sdwa v151, sext(v151) dst_sel:DWORD dst_unused:UNUSED_PAD src0_sel:BYTE_0
	v_pack_b32_f16 v151, v152, v151
	v_pk_mul_f16 v151, v151, v159
	v_pk_fma_f16 v154, v160, v158, v155
	v_pk_fma_f16 v155, v151, v158, v30
	v_mul_u32_u24_sdwa v158, v31, s51 dst_sel:DWORD dst_unused:UNUSED_PAD src0_sel:WORD_1 src1_sel:DWORD
	s_waitcnt vmcnt(7)
	v_mul_u32_u24_e32 v30, 0x10001, v165
	s_waitcnt vmcnt(6)
	v_pk_lshrrev_b16 v31, 8, v166 op_sel:[1,0] op_sel_hi:[0,0]
	v_lshrrev_b32_e32 v151, 16, v31
	v_cvt_f16_i16_sdwa v31, sext(v31) dst_sel:DWORD dst_unused:UNUSED_PAD src0_sel:BYTE_0
	v_cvt_f16_i16_sdwa v151, sext(v151) dst_sel:DWORD dst_unused:UNUSED_PAD src0_sel:BYTE_0
	v_pack_b32_f16 v31, v31, v151
	v_pk_lshrrev_b16 v151, 8, v166 op_sel:[1,1] op_sel_hi:[0,1]
	v_lshrrev_b32_e32 v152, 16, v151
	v_cvt_f16_i16_sdwa v151, sext(v151) dst_sel:DWORD dst_unused:UNUSED_PAD src0_sel:BYTE_0
	v_cvt_f16_i16_sdwa v152, sext(v152) dst_sel:DWORD dst_unused:UNUSED_PAD src0_sel:BYTE_0
	v_pack_b32_f16 v151, v151, v152
	v_pk_mul_f16 v31, v31, v30
	v_pk_mul_f16 v30, v151, v30
	v_pk_fma_f16 v157, v30, v158, v157
	s_waitcnt vmcnt(5)
	v_mul_u32_u24_e32 v159, 0x10001, v162
	v_add_co_u32_e32 v162, vcc, s29, v85
	v_addc_co_u32_e32 v165, vcc, v147, v86, vcc
	v_add_co_u32_e32 v30, vcc, v162, v148
	v_pk_fma_f16 v156, v31, v158, v156
	v_addc_co_u32_e32 v31, vcc, v165, v146, vcc
	v_add_co_u32_e32 v151, vcc, v30, v74
	v_addc_co_u32_e32 v152, vcc, 0, v31, vcc
	global_load_ushort v166, v[30:31], off
	global_load_dword v167, v[151:152], off offset:2
	s_waitcnt vmcnt(6)
	v_pk_lshrrev_b16 v160, 8, v163 op_sel:[1,0] op_sel_hi:[0,0]
	v_lshrrev_b32_e32 v161, 16, v160
	v_cvt_f16_i16_sdwa v30, sext(v160) dst_sel:DWORD dst_unused:UNUSED_PAD src0_sel:BYTE_0
	v_cvt_f16_i16_sdwa v31, sext(v161) dst_sel:DWORD dst_unused:UNUSED_PAD src0_sel:BYTE_0
	v_pack_b32_f16 v30, v30, v31
	v_pk_mul_f16 v160, v30, v159
	v_add_co_u32_e32 v30, vcc, v162, v150
	v_addc_co_u32_e32 v31, vcc, v165, v149, vcc
	v_pk_lshrrev_b16 v161, 8, v163 op_sel:[1,1] op_sel_hi:[0,1]
	v_add_co_u32_e32 v151, vcc, v30, v76
	v_addc_co_u32_e32 v152, vcc, 0, v31, vcc
	global_load_ushort v162, v[30:31], off
	global_load_dword v163, v[151:152], off offset:2
	v_lshrrev_b32_e32 v30, 16, v161
	v_cvt_f16_i16_sdwa v31, sext(v161) dst_sel:DWORD dst_unused:UNUSED_PAD src0_sel:BYTE_0
	v_cvt_f16_i16_sdwa v30, sext(v30) dst_sel:DWORD dst_unused:UNUSED_PAD src0_sel:BYTE_0
	v_pack_b32_f16 v30, v31, v30
	v_pk_mul_f16 v30, v30, v159
	v_pk_fma_f16 v155, v30, v158, v155
	v_pk_fma_f16 v154, v160, v158, v154
	v_mul_u32_u24_sdwa v158, v32, s51 dst_sel:DWORD dst_unused:UNUSED_PAD src0_sel:WORD_0 src1_sel:DWORD
	s_waitcnt vmcnt(7)
	v_mul_u32_u24_e32 v30, 0x10001, v169
	s_waitcnt vmcnt(6)
	v_pk_lshrrev_b16 v31, 8, v170 op_sel:[1,0] op_sel_hi:[0,0]
	v_lshrrev_b32_e32 v151, 16, v31
	v_cvt_f16_i16_sdwa v31, sext(v31) dst_sel:DWORD dst_unused:UNUSED_PAD src0_sel:BYTE_0
	v_cvt_f16_i16_sdwa v151, sext(v151) dst_sel:DWORD dst_unused:UNUSED_PAD src0_sel:BYTE_0
	v_pack_b32_f16 v31, v31, v151
	v_pk_lshrrev_b16 v151, 8, v170 op_sel:[1,1] op_sel_hi:[0,1]
	v_lshrrev_b32_e32 v152, 16, v151
	v_cvt_f16_i16_sdwa v151, sext(v151) dst_sel:DWORD dst_unused:UNUSED_PAD src0_sel:BYTE_0
	v_cvt_f16_i16_sdwa v152, sext(v152) dst_sel:DWORD dst_unused:UNUSED_PAD src0_sel:BYTE_0
	v_pack_b32_f16 v151, v151, v152
	v_pk_mul_f16 v31, v31, v30
	v_pk_mul_f16 v30, v151, v30
	v_pk_fma_f16 v157, v30, v158, v157
	s_waitcnt vmcnt(5)
	v_mul_u32_u24_e32 v159, 0x10001, v164
	v_add_co_u32_e32 v164, vcc, s29, v87
	v_addc_co_u32_e32 v165, vcc, v147, v88, vcc
	v_add_co_u32_e32 v30, vcc, v164, v148
	v_pk_fma_f16 v156, v31, v158, v156
	v_addc_co_u32_e32 v31, vcc, v165, v146, vcc
	v_add_co_u32_e32 v151, vcc, v30, v74
	s_waitcnt vmcnt(4)
	v_pk_lshrrev_b16 v160, 8, v153 op_sel:[1,0] op_sel_hi:[0,0]
	v_addc_co_u32_e32 v152, vcc, 0, v31, vcc
	global_load_ushort v168, v[30:31], off
	global_load_dword v169, v[151:152], off offset:2
	v_lshrrev_b32_e32 v161, 16, v160
	v_cvt_f16_i16_sdwa v30, sext(v160) dst_sel:DWORD dst_unused:UNUSED_PAD src0_sel:BYTE_0
	v_cvt_f16_i16_sdwa v31, sext(v161) dst_sel:DWORD dst_unused:UNUSED_PAD src0_sel:BYTE_0
	v_pack_b32_f16 v30, v30, v31
	v_pk_mul_f16 v160, v30, v159
	v_add_co_u32_e32 v30, vcc, v164, v150
	v_addc_co_u32_e32 v31, vcc, v165, v149, vcc
	v_add_co_u32_e32 v151, vcc, v30, v76
	v_addc_co_u32_e32 v152, vcc, 0, v31, vcc
	global_load_ushort v161, v[30:31], off
	global_load_dword v164, v[151:152], off offset:2
	v_pk_lshrrev_b16 v153, 8, v153 op_sel:[1,1] op_sel_hi:[0,1]
	v_lshrrev_b32_e32 v30, 16, v153
	v_cvt_f16_i16_sdwa v31, sext(v153) dst_sel:DWORD dst_unused:UNUSED_PAD src0_sel:BYTE_0
	v_cvt_f16_i16_sdwa v30, sext(v30) dst_sel:DWORD dst_unused:UNUSED_PAD src0_sel:BYTE_0
	v_pack_b32_f16 v30, v31, v30
	v_pk_mul_f16 v30, v30, v159
	v_pk_fma_f16 v153, v160, v158, v154
	v_pk_fma_f16 v154, v30, v158, v155
	v_mul_u32_u24_sdwa v32, v32, s51 dst_sel:DWORD dst_unused:UNUSED_PAD src0_sel:WORD_1 src1_sel:DWORD
	v_add_co_u32_e32 v160, vcc, s29, v89
	s_waitcnt vmcnt(6)
	v_pk_lshrrev_b16 v31, 8, v167 op_sel:[1,0] op_sel_hi:[0,0]
	v_lshrrev_b32_e32 v151, 16, v31
	v_cvt_f16_i16_sdwa v31, sext(v31) dst_sel:DWORD dst_unused:UNUSED_PAD src0_sel:BYTE_0
	v_cvt_f16_i16_sdwa v151, sext(v151) dst_sel:DWORD dst_unused:UNUSED_PAD src0_sel:BYTE_0
	v_pack_b32_f16 v31, v31, v151
	v_pk_lshrrev_b16 v151, 8, v167 op_sel:[1,1] op_sel_hi:[0,1]
	v_lshrrev_b32_e32 v152, 16, v151
	v_cvt_f16_i16_sdwa v151, sext(v151) dst_sel:DWORD dst_unused:UNUSED_PAD src0_sel:BYTE_0
	v_cvt_f16_i16_sdwa v152, sext(v152) dst_sel:DWORD dst_unused:UNUSED_PAD src0_sel:BYTE_0
	v_mul_u32_u24_e32 v30, 0x10001, v166
	v_pack_b32_f16 v151, v151, v152
	v_pk_mul_f16 v31, v31, v30
	v_pk_mul_f16 v30, v151, v30
	v_pk_fma_f16 v155, v31, v32, v156
	v_pk_fma_f16 v156, v30, v32, v157
	s_waitcnt vmcnt(5)
	v_mul_u32_u24_e32 v157, 0x10001, v162
	v_addc_co_u32_e32 v162, vcc, v147, v90, vcc
	v_add_co_u32_e32 v30, vcc, v160, v148
	v_addc_co_u32_e32 v31, vcc, v162, v146, vcc
	v_add_co_u32_e32 v151, vcc, v30, v74
	s_waitcnt vmcnt(4)
	v_pk_lshrrev_b16 v158, 8, v163 op_sel:[1,0] op_sel_hi:[0,0]
	v_addc_co_u32_e32 v152, vcc, 0, v31, vcc
	global_load_ushort v165, v[30:31], off
	global_load_dword v166, v[151:152], off offset:2
	v_lshrrev_b32_e32 v159, 16, v158
	v_cvt_f16_i16_sdwa v30, sext(v158) dst_sel:DWORD dst_unused:UNUSED_PAD src0_sel:BYTE_0
	v_cvt_f16_i16_sdwa v31, sext(v159) dst_sel:DWORD dst_unused:UNUSED_PAD src0_sel:BYTE_0
	v_pack_b32_f16 v30, v30, v31
	v_pk_mul_f16 v158, v30, v157
	v_add_co_u32_e32 v30, vcc, v160, v150
	v_addc_co_u32_e32 v31, vcc, v162, v149, vcc
	v_add_co_u32_e32 v151, vcc, v30, v76
	v_pk_lshrrev_b16 v159, 8, v163 op_sel:[1,1] op_sel_hi:[0,1]
	v_addc_co_u32_e32 v152, vcc, 0, v31, vcc
	global_load_ushort v160, v[30:31], off
	global_load_dword v162, v[151:152], off offset:2
	v_lshrrev_b32_e32 v30, 16, v159
	v_cvt_f16_i16_sdwa v31, sext(v159) dst_sel:DWORD dst_unused:UNUSED_PAD src0_sel:BYTE_0
	v_cvt_f16_i16_sdwa v30, sext(v30) dst_sel:DWORD dst_unused:UNUSED_PAD src0_sel:BYTE_0
	v_pack_b32_f16 v30, v31, v30
	v_pk_mul_f16 v30, v30, v157
	v_pk_fma_f16 v153, v158, v32, v153
	v_pk_fma_f16 v32, v30, v32, v154
	v_mul_u32_u24_sdwa v154, v33, s51 dst_sel:DWORD dst_unused:UNUSED_PAD src0_sel:WORD_0 src1_sel:DWORD
	s_waitcnt vmcnt(7)
	v_mul_u32_u24_e32 v30, 0x10001, v168
	s_waitcnt vmcnt(6)
	v_pk_lshrrev_b16 v31, 8, v169 op_sel:[1,0] op_sel_hi:[0,0]
	v_lshrrev_b32_e32 v151, 16, v31
	v_cvt_f16_i16_sdwa v31, sext(v31) dst_sel:DWORD dst_unused:UNUSED_PAD src0_sel:BYTE_0
	v_cvt_f16_i16_sdwa v151, sext(v151) dst_sel:DWORD dst_unused:UNUSED_PAD src0_sel:BYTE_0
	v_pack_b32_f16 v31, v31, v151
	v_pk_lshrrev_b16 v151, 8, v169 op_sel:[1,1] op_sel_hi:[0,1]
	v_lshrrev_b32_e32 v152, 16, v151
	v_cvt_f16_i16_sdwa v151, sext(v151) dst_sel:DWORD dst_unused:UNUSED_PAD src0_sel:BYTE_0
	v_cvt_f16_i16_sdwa v152, sext(v152) dst_sel:DWORD dst_unused:UNUSED_PAD src0_sel:BYTE_0
	v_pack_b32_f16 v151, v151, v152
	v_pk_mul_f16 v31, v31, v30
	v_pk_mul_f16 v30, v151, v30
	v_pk_fma_f16 v156, v30, v154, v156
	s_waitcnt vmcnt(5)
	v_mul_u32_u24_e32 v157, 0x10001, v161
	v_add_co_u32_e32 v161, vcc, s29, v91
	v_addc_co_u32_e32 v163, vcc, v147, v92, vcc
	v_add_co_u32_e32 v30, vcc, v161, v148
	v_pk_fma_f16 v155, v31, v154, v155
	v_addc_co_u32_e32 v31, vcc, v163, v146, vcc
	v_add_co_u32_e32 v151, vcc, v30, v74
	s_waitcnt vmcnt(4)
	v_pk_lshrrev_b16 v158, 8, v164 op_sel:[1,0] op_sel_hi:[0,0]
	v_addc_co_u32_e32 v152, vcc, 0, v31, vcc
	global_load_ushort v167, v[30:31], off
	global_load_dword v168, v[151:152], off offset:2
	v_lshrrev_b32_e32 v159, 16, v158
	v_cvt_f16_i16_sdwa v30, sext(v158) dst_sel:DWORD dst_unused:UNUSED_PAD src0_sel:BYTE_0
	v_cvt_f16_i16_sdwa v31, sext(v159) dst_sel:DWORD dst_unused:UNUSED_PAD src0_sel:BYTE_0
	v_pack_b32_f16 v30, v30, v31
	v_pk_mul_f16 v158, v30, v157
	v_add_co_u32_e32 v30, vcc, v161, v150
	v_addc_co_u32_e32 v31, vcc, v163, v149, vcc
	v_add_co_u32_e32 v151, vcc, v30, v76
	v_addc_co_u32_e32 v152, vcc, 0, v31, vcc
	global_load_ushort v161, v[30:31], off
	s_nop 0
	global_load_dword v151, v[151:152], off offset:2
	v_pk_lshrrev_b16 v159, 8, v164 op_sel:[1,1] op_sel_hi:[0,1]
	v_lshrrev_b32_e32 v30, 16, v159
	v_cvt_f16_i16_sdwa v31, sext(v159) dst_sel:DWORD dst_unused:UNUSED_PAD src0_sel:BYTE_0
	v_cvt_f16_i16_sdwa v30, sext(v30) dst_sel:DWORD dst_unused:UNUSED_PAD src0_sel:BYTE_0
	v_pack_b32_f16 v30, v31, v30
	v_pk_mul_f16 v30, v30, v157
	v_pk_fma_f16 v152, v158, v154, v153
	v_pk_fma_f16 v153, v30, v154, v32
	v_mul_u32_u24_sdwa v154, v33, s51 dst_sel:DWORD dst_unused:UNUSED_PAD src0_sel:WORD_1 src1_sel:DWORD
	s_waitcnt vmcnt(7)
	v_mul_u32_u24_e32 v30, 0x10001, v165
	s_waitcnt vmcnt(6)
	v_pk_lshrrev_b16 v31, 8, v166 op_sel:[1,0] op_sel_hi:[0,0]
	v_lshrrev_b32_e32 v32, 16, v31
	v_cvt_f16_i16_sdwa v31, sext(v31) dst_sel:DWORD dst_unused:UNUSED_PAD src0_sel:BYTE_0
	v_cvt_f16_i16_sdwa v32, sext(v32) dst_sel:DWORD dst_unused:UNUSED_PAD src0_sel:BYTE_0
	v_pack_b32_f16 v31, v31, v32
	v_pk_lshrrev_b16 v32, 8, v166 op_sel:[1,1] op_sel_hi:[0,1]
	v_lshrrev_b32_e32 v33, 16, v32
	v_cvt_f16_i16_sdwa v32, sext(v32) dst_sel:DWORD dst_unused:UNUSED_PAD src0_sel:BYTE_0
	v_cvt_f16_i16_sdwa v33, sext(v33) dst_sel:DWORD dst_unused:UNUSED_PAD src0_sel:BYTE_0
	v_pack_b32_f16 v32, v32, v33
	v_pk_mul_f16 v31, v31, v30
	v_pk_mul_f16 v30, v32, v30
	v_pk_fma_f16 v156, v30, v154, v156
	v_pk_fma_f16 v155, v31, v154, v155
	s_waitcnt vmcnt(5)
	v_mul_u32_u24_e32 v157, 0x10001, v160
	v_add_co_u32_e32 v160, vcc, s29, v93
	v_addc_co_u32_e32 v163, vcc, v147, v94, vcc
	v_add_co_u32_e32 v30, vcc, v160, v148
	v_addc_co_u32_e32 v31, vcc, v163, v146, vcc
	;; [unrolled: 2-line block ×3, first 2 shown]
	global_load_ushort v164, v[30:31], off
	global_load_dword v165, v[32:33], off offset:2
	s_waitcnt vmcnt(6)
	v_pk_lshrrev_b16 v158, 8, v162 op_sel:[1,0] op_sel_hi:[0,0]
	v_lshrrev_b32_e32 v159, 16, v158
	v_cvt_f16_i16_sdwa v30, sext(v158) dst_sel:DWORD dst_unused:UNUSED_PAD src0_sel:BYTE_0
	v_cvt_f16_i16_sdwa v31, sext(v159) dst_sel:DWORD dst_unused:UNUSED_PAD src0_sel:BYTE_0
	v_pack_b32_f16 v30, v30, v31
	v_pk_mul_f16 v158, v30, v157
	v_add_co_u32_e32 v30, vcc, v160, v150
	v_addc_co_u32_e32 v31, vcc, v163, v149, vcc
	v_pk_lshrrev_b16 v159, 8, v162 op_sel:[1,1] op_sel_hi:[0,1]
	v_add_co_u32_e32 v32, vcc, v30, v76
	v_addc_co_u32_e32 v33, vcc, 0, v31, vcc
	global_load_ushort v160, v[30:31], off
	global_load_dword v162, v[32:33], off offset:2
	v_lshrrev_b32_e32 v30, 16, v159
	v_cvt_f16_i16_sdwa v31, sext(v159) dst_sel:DWORD dst_unused:UNUSED_PAD src0_sel:BYTE_0
	v_cvt_f16_i16_sdwa v30, sext(v30) dst_sel:DWORD dst_unused:UNUSED_PAD src0_sel:BYTE_0
	v_pack_b32_f16 v30, v31, v30
	v_pk_mul_f16 v30, v30, v157
	v_pk_fma_f16 v153, v30, v154, v153
	v_pk_fma_f16 v152, v158, v154, v152
	s_waitcnt lgkmcnt(2)
	v_mul_u32_u24_sdwa v154, v26, s51 dst_sel:DWORD dst_unused:UNUSED_PAD src0_sel:WORD_0 src1_sel:DWORD
	v_mul_u32_u24_sdwa v26, v26, s51 dst_sel:DWORD dst_unused:UNUSED_PAD src0_sel:WORD_1 src1_sel:DWORD
	s_waitcnt vmcnt(7)
	v_mul_u32_u24_e32 v30, 0x10001, v167
	s_waitcnt vmcnt(6)
	v_pk_lshrrev_b16 v31, 8, v168 op_sel:[1,0] op_sel_hi:[0,0]
	v_lshrrev_b32_e32 v32, 16, v31
	v_cvt_f16_i16_sdwa v31, sext(v31) dst_sel:DWORD dst_unused:UNUSED_PAD src0_sel:BYTE_0
	v_cvt_f16_i16_sdwa v32, sext(v32) dst_sel:DWORD dst_unused:UNUSED_PAD src0_sel:BYTE_0
	v_pack_b32_f16 v31, v31, v32
	v_pk_lshrrev_b16 v32, 8, v168 op_sel:[1,1] op_sel_hi:[0,1]
	v_lshrrev_b32_e32 v33, 16, v32
	v_cvt_f16_i16_sdwa v32, sext(v32) dst_sel:DWORD dst_unused:UNUSED_PAD src0_sel:BYTE_0
	v_cvt_f16_i16_sdwa v33, sext(v33) dst_sel:DWORD dst_unused:UNUSED_PAD src0_sel:BYTE_0
	v_pack_b32_f16 v32, v32, v33
	v_pk_mul_f16 v31, v31, v30
	v_pk_mul_f16 v30, v32, v30
	v_pk_fma_f16 v156, v30, v154, v156
	s_waitcnt vmcnt(5)
	v_mul_u32_u24_e32 v157, 0x10001, v161
	v_add_co_u32_e32 v161, vcc, s29, v96
	v_addc_co_u32_e32 v163, vcc, v147, v97, vcc
	v_add_co_u32_e32 v30, vcc, v161, v148
	v_pk_fma_f16 v155, v31, v154, v155
	v_addc_co_u32_e32 v31, vcc, v163, v146, vcc
	v_add_co_u32_e32 v32, vcc, v30, v74
	s_waitcnt vmcnt(4)
	v_pk_lshrrev_b16 v158, 8, v151 op_sel:[1,0] op_sel_hi:[0,0]
	v_addc_co_u32_e32 v33, vcc, 0, v31, vcc
	global_load_ushort v166, v[30:31], off
	global_load_dword v167, v[32:33], off offset:2
	v_lshrrev_b32_e32 v159, 16, v158
	v_cvt_f16_i16_sdwa v30, sext(v158) dst_sel:DWORD dst_unused:UNUSED_PAD src0_sel:BYTE_0
	v_cvt_f16_i16_sdwa v31, sext(v159) dst_sel:DWORD dst_unused:UNUSED_PAD src0_sel:BYTE_0
	v_pack_b32_f16 v30, v30, v31
	v_pk_mul_f16 v158, v30, v157
	v_add_co_u32_e32 v30, vcc, v161, v150
	v_addc_co_u32_e32 v31, vcc, v163, v149, vcc
	v_add_co_u32_e32 v32, vcc, v30, v76
	v_addc_co_u32_e32 v33, vcc, 0, v31, vcc
	global_load_ushort v159, v[30:31], off
	global_load_dword v161, v[32:33], off offset:2
	v_pk_lshrrev_b16 v151, 8, v151 op_sel:[1,1] op_sel_hi:[0,1]
	v_lshrrev_b32_e32 v30, 16, v151
	v_cvt_f16_i16_sdwa v31, sext(v151) dst_sel:DWORD dst_unused:UNUSED_PAD src0_sel:BYTE_0
	v_cvt_f16_i16_sdwa v30, sext(v30) dst_sel:DWORD dst_unused:UNUSED_PAD src0_sel:BYTE_0
	v_pack_b32_f16 v30, v31, v30
	v_pk_mul_f16 v30, v30, v157
	v_pk_fma_f16 v151, v158, v154, v152
	v_pk_fma_f16 v152, v30, v154, v153
	s_waitcnt vmcnt(7)
	v_mul_u32_u24_e32 v30, 0x10001, v164
	s_waitcnt vmcnt(6)
	v_pk_lshrrev_b16 v31, 8, v165 op_sel:[1,0] op_sel_hi:[0,0]
	v_lshrrev_b32_e32 v32, 16, v31
	v_cvt_f16_i16_sdwa v31, sext(v31) dst_sel:DWORD dst_unused:UNUSED_PAD src0_sel:BYTE_0
	v_cvt_f16_i16_sdwa v32, sext(v32) dst_sel:DWORD dst_unused:UNUSED_PAD src0_sel:BYTE_0
	v_pack_b32_f16 v31, v31, v32
	v_pk_lshrrev_b16 v32, 8, v165 op_sel:[1,1] op_sel_hi:[0,1]
	v_lshrrev_b32_e32 v33, 16, v32
	v_cvt_f16_i16_sdwa v32, sext(v32) dst_sel:DWORD dst_unused:UNUSED_PAD src0_sel:BYTE_0
	v_cvt_f16_i16_sdwa v33, sext(v33) dst_sel:DWORD dst_unused:UNUSED_PAD src0_sel:BYTE_0
	v_pk_mul_f16 v31, v31, v30
	v_pack_b32_f16 v32, v32, v33
	v_add_co_u32_e32 v158, vcc, s29, v98
	v_pk_mul_f16 v30, v32, v30
	v_pk_fma_f16 v153, v31, v26, v155
	s_waitcnt vmcnt(5)
	v_mul_u32_u24_e32 v155, 0x10001, v160
	v_addc_co_u32_e32 v160, vcc, v147, v99, vcc
	v_pk_fma_f16 v154, v30, v26, v156
	v_add_co_u32_e32 v30, vcc, v158, v148
	v_addc_co_u32_e32 v31, vcc, v160, v146, vcc
	v_add_co_u32_e32 v32, vcc, v30, v74
	s_waitcnt vmcnt(4)
	v_pk_lshrrev_b16 v156, 8, v162 op_sel:[1,0] op_sel_hi:[0,0]
	v_addc_co_u32_e32 v33, vcc, 0, v31, vcc
	global_load_ushort v163, v[30:31], off
	global_load_dword v164, v[32:33], off offset:2
	v_lshrrev_b32_e32 v157, 16, v156
	v_cvt_f16_i16_sdwa v30, sext(v156) dst_sel:DWORD dst_unused:UNUSED_PAD src0_sel:BYTE_0
	v_cvt_f16_i16_sdwa v31, sext(v157) dst_sel:DWORD dst_unused:UNUSED_PAD src0_sel:BYTE_0
	v_pack_b32_f16 v30, v30, v31
	v_pk_mul_f16 v156, v30, v155
	v_add_co_u32_e32 v30, vcc, v158, v150
	v_addc_co_u32_e32 v31, vcc, v160, v149, vcc
	v_add_co_u32_e32 v32, vcc, v30, v76
	v_pk_lshrrev_b16 v157, 8, v162 op_sel:[1,1] op_sel_hi:[0,1]
	v_addc_co_u32_e32 v33, vcc, 0, v31, vcc
	global_load_ushort v158, v[30:31], off
	global_load_dword v160, v[32:33], off offset:2
	v_lshrrev_b32_e32 v30, 16, v157
	v_cvt_f16_i16_sdwa v31, sext(v157) dst_sel:DWORD dst_unused:UNUSED_PAD src0_sel:BYTE_0
	v_cvt_f16_i16_sdwa v30, sext(v30) dst_sel:DWORD dst_unused:UNUSED_PAD src0_sel:BYTE_0
	v_pack_b32_f16 v30, v31, v30
	v_pk_mul_f16 v30, v30, v155
	v_pk_fma_f16 v151, v156, v26, v151
	v_pk_fma_f16 v26, v30, v26, v152
	v_mul_u32_u24_sdwa v152, v27, s51 dst_sel:DWORD dst_unused:UNUSED_PAD src0_sel:WORD_0 src1_sel:DWORD
	s_waitcnt vmcnt(7)
	v_mul_u32_u24_e32 v30, 0x10001, v166
	s_waitcnt vmcnt(6)
	v_pk_lshrrev_b16 v31, 8, v167 op_sel:[1,0] op_sel_hi:[0,0]
	v_lshrrev_b32_e32 v32, 16, v31
	v_cvt_f16_i16_sdwa v31, sext(v31) dst_sel:DWORD dst_unused:UNUSED_PAD src0_sel:BYTE_0
	v_cvt_f16_i16_sdwa v32, sext(v32) dst_sel:DWORD dst_unused:UNUSED_PAD src0_sel:BYTE_0
	v_pack_b32_f16 v31, v31, v32
	v_pk_lshrrev_b16 v32, 8, v167 op_sel:[1,1] op_sel_hi:[0,1]
	v_lshrrev_b32_e32 v33, 16, v32
	v_cvt_f16_i16_sdwa v32, sext(v32) dst_sel:DWORD dst_unused:UNUSED_PAD src0_sel:BYTE_0
	v_cvt_f16_i16_sdwa v33, sext(v33) dst_sel:DWORD dst_unused:UNUSED_PAD src0_sel:BYTE_0
	v_pack_b32_f16 v32, v32, v33
	v_pk_mul_f16 v31, v31, v30
	v_pk_mul_f16 v30, v32, v30
	v_pk_fma_f16 v154, v30, v152, v154
	s_waitcnt vmcnt(5)
	v_mul_u32_u24_e32 v155, 0x10001, v159
	v_add_co_u32_e32 v159, vcc, s29, v100
	v_addc_co_u32_e32 v162, vcc, v147, v101, vcc
	v_add_co_u32_e32 v30, vcc, v159, v148
	v_pk_fma_f16 v153, v31, v152, v153
	v_addc_co_u32_e32 v31, vcc, v162, v146, vcc
	v_add_co_u32_e32 v32, vcc, v30, v74
	s_waitcnt vmcnt(4)
	v_pk_lshrrev_b16 v156, 8, v161 op_sel:[1,0] op_sel_hi:[0,0]
	v_addc_co_u32_e32 v33, vcc, 0, v31, vcc
	global_load_ushort v165, v[30:31], off
	global_load_dword v166, v[32:33], off offset:2
	v_lshrrev_b32_e32 v157, 16, v156
	v_cvt_f16_i16_sdwa v30, sext(v156) dst_sel:DWORD dst_unused:UNUSED_PAD src0_sel:BYTE_0
	v_cvt_f16_i16_sdwa v31, sext(v157) dst_sel:DWORD dst_unused:UNUSED_PAD src0_sel:BYTE_0
	v_pack_b32_f16 v30, v30, v31
	v_pk_mul_f16 v156, v30, v155
	v_add_co_u32_e32 v30, vcc, v159, v150
	v_addc_co_u32_e32 v31, vcc, v162, v149, vcc
	v_add_co_u32_e32 v32, vcc, v30, v76
	v_addc_co_u32_e32 v33, vcc, 0, v31, vcc
	global_load_ushort v159, v[30:31], off
	s_nop 0
	global_load_dword v32, v[32:33], off offset:2
	v_pk_lshrrev_b16 v157, 8, v161 op_sel:[1,1] op_sel_hi:[0,1]
	v_lshrrev_b32_e32 v30, 16, v157
	v_cvt_f16_i16_sdwa v31, sext(v157) dst_sel:DWORD dst_unused:UNUSED_PAD src0_sel:BYTE_0
	v_cvt_f16_i16_sdwa v30, sext(v30) dst_sel:DWORD dst_unused:UNUSED_PAD src0_sel:BYTE_0
	v_pack_b32_f16 v30, v31, v30
	v_pk_mul_f16 v30, v30, v155
	v_pk_fma_f16 v33, v156, v152, v151
	v_pk_fma_f16 v151, v30, v152, v26
	v_mul_u32_u24_sdwa v152, v27, s51 dst_sel:DWORD dst_unused:UNUSED_PAD src0_sel:WORD_1 src1_sel:DWORD
	s_waitcnt vmcnt(6)
	v_pk_lshrrev_b16 v27, 8, v164 op_sel:[1,0] op_sel_hi:[0,0]
	v_lshrrev_b32_e32 v30, 16, v27
	v_cvt_f16_i16_sdwa v27, sext(v27) dst_sel:DWORD dst_unused:UNUSED_PAD src0_sel:BYTE_0
	v_cvt_f16_i16_sdwa v30, sext(v30) dst_sel:DWORD dst_unused:UNUSED_PAD src0_sel:BYTE_0
	v_pack_b32_f16 v27, v27, v30
	v_pk_lshrrev_b16 v30, 8, v164 op_sel:[1,1] op_sel_hi:[0,1]
	v_lshrrev_b32_e32 v31, 16, v30
	v_cvt_f16_i16_sdwa v30, sext(v30) dst_sel:DWORD dst_unused:UNUSED_PAD src0_sel:BYTE_0
	v_cvt_f16_i16_sdwa v31, sext(v31) dst_sel:DWORD dst_unused:UNUSED_PAD src0_sel:BYTE_0
	v_mul_u32_u24_e32 v26, 0x10001, v163
	v_pack_b32_f16 v30, v30, v31
	v_pk_mul_f16 v27, v27, v26
	v_pk_mul_f16 v26, v30, v26
	v_pk_fma_f16 v154, v26, v152, v154
	s_waitcnt vmcnt(5)
	v_mul_u32_u24_e32 v155, 0x10001, v158
	v_add_co_u32_e32 v158, vcc, s29, v102
	v_addc_co_u32_e32 v161, vcc, v147, v103, vcc
	v_add_co_u32_e32 v26, vcc, v158, v148
	v_pk_fma_f16 v153, v27, v152, v153
	v_addc_co_u32_e32 v27, vcc, v161, v146, vcc
	v_add_co_u32_e32 v30, vcc, v26, v74
	v_addc_co_u32_e32 v31, vcc, 0, v27, vcc
	global_load_ushort v162, v[26:27], off
	global_load_dword v163, v[30:31], off offset:2
	s_waitcnt vmcnt(6)
	v_pk_lshrrev_b16 v156, 8, v160 op_sel:[1,0] op_sel_hi:[0,0]
	v_lshrrev_b32_e32 v157, 16, v156
	v_cvt_f16_i16_sdwa v26, sext(v156) dst_sel:DWORD dst_unused:UNUSED_PAD src0_sel:BYTE_0
	v_cvt_f16_i16_sdwa v27, sext(v157) dst_sel:DWORD dst_unused:UNUSED_PAD src0_sel:BYTE_0
	v_pack_b32_f16 v26, v26, v27
	v_pk_mul_f16 v156, v26, v155
	v_add_co_u32_e32 v26, vcc, v158, v150
	v_addc_co_u32_e32 v27, vcc, v161, v149, vcc
	v_pk_lshrrev_b16 v157, 8, v160 op_sel:[1,1] op_sel_hi:[0,1]
	v_add_co_u32_e32 v30, vcc, v26, v76
	v_addc_co_u32_e32 v31, vcc, 0, v27, vcc
	global_load_ushort v158, v[26:27], off
	global_load_dword v160, v[30:31], off offset:2
	v_lshrrev_b32_e32 v26, 16, v157
	v_cvt_f16_i16_sdwa v27, sext(v157) dst_sel:DWORD dst_unused:UNUSED_PAD src0_sel:BYTE_0
	v_cvt_f16_i16_sdwa v26, sext(v26) dst_sel:DWORD dst_unused:UNUSED_PAD src0_sel:BYTE_0
	v_pack_b32_f16 v26, v27, v26
	v_pk_mul_f16 v26, v26, v155
	v_pk_fma_f16 v151, v26, v152, v151
	v_pk_fma_f16 v33, v156, v152, v33
	v_mul_u32_u24_sdwa v152, v28, s51 dst_sel:DWORD dst_unused:UNUSED_PAD src0_sel:WORD_0 src1_sel:DWORD
	v_mul_u32_u24_sdwa v28, v28, s51 dst_sel:DWORD dst_unused:UNUSED_PAD src0_sel:WORD_1 src1_sel:DWORD
	s_waitcnt vmcnt(7)
	v_mul_u32_u24_e32 v26, 0x10001, v165
	s_waitcnt vmcnt(6)
	v_pk_lshrrev_b16 v27, 8, v166 op_sel:[1,0] op_sel_hi:[0,0]
	v_lshrrev_b32_e32 v30, 16, v27
	v_cvt_f16_i16_sdwa v27, sext(v27) dst_sel:DWORD dst_unused:UNUSED_PAD src0_sel:BYTE_0
	v_cvt_f16_i16_sdwa v30, sext(v30) dst_sel:DWORD dst_unused:UNUSED_PAD src0_sel:BYTE_0
	v_pack_b32_f16 v27, v27, v30
	v_pk_lshrrev_b16 v30, 8, v166 op_sel:[1,1] op_sel_hi:[0,1]
	v_lshrrev_b32_e32 v31, 16, v30
	v_cvt_f16_i16_sdwa v30, sext(v30) dst_sel:DWORD dst_unused:UNUSED_PAD src0_sel:BYTE_0
	v_cvt_f16_i16_sdwa v31, sext(v31) dst_sel:DWORD dst_unused:UNUSED_PAD src0_sel:BYTE_0
	v_pack_b32_f16 v30, v30, v31
	v_pk_mul_f16 v27, v27, v26
	v_pk_mul_f16 v26, v30, v26
	v_pk_fma_f16 v154, v26, v152, v154
	s_waitcnt vmcnt(5)
	v_mul_u32_u24_e32 v155, 0x10001, v159
	v_add_co_u32_e32 v159, vcc, s29, v104
	v_addc_co_u32_e32 v161, vcc, v147, v105, vcc
	v_add_co_u32_e32 v26, vcc, v159, v148
	v_pk_fma_f16 v153, v27, v152, v153
	v_addc_co_u32_e32 v27, vcc, v161, v146, vcc
	v_add_co_u32_e32 v30, vcc, v26, v74
	s_waitcnt vmcnt(4)
	v_pk_lshrrev_b16 v156, 8, v32 op_sel:[1,0] op_sel_hi:[0,0]
	v_addc_co_u32_e32 v31, vcc, 0, v27, vcc
	global_load_ushort v164, v[26:27], off
	global_load_dword v165, v[30:31], off offset:2
	v_lshrrev_b32_e32 v157, 16, v156
	v_cvt_f16_i16_sdwa v26, sext(v156) dst_sel:DWORD dst_unused:UNUSED_PAD src0_sel:BYTE_0
	v_cvt_f16_i16_sdwa v27, sext(v157) dst_sel:DWORD dst_unused:UNUSED_PAD src0_sel:BYTE_0
	v_pack_b32_f16 v26, v26, v27
	v_pk_mul_f16 v156, v26, v155
	v_add_co_u32_e32 v26, vcc, v159, v150
	v_addc_co_u32_e32 v27, vcc, v161, v149, vcc
	v_add_co_u32_e32 v30, vcc, v26, v76
	v_addc_co_u32_e32 v31, vcc, 0, v27, vcc
	global_load_ushort v157, v[26:27], off
	global_load_dword v159, v[30:31], off offset:2
	v_pk_lshrrev_b16 v32, 8, v32 op_sel:[1,1] op_sel_hi:[0,1]
	v_lshrrev_b32_e32 v26, 16, v32
	v_cvt_f16_i16_sdwa v27, sext(v32) dst_sel:DWORD dst_unused:UNUSED_PAD src0_sel:BYTE_0
	v_cvt_f16_i16_sdwa v26, sext(v26) dst_sel:DWORD dst_unused:UNUSED_PAD src0_sel:BYTE_0
	v_pack_b32_f16 v26, v27, v26
	v_pk_mul_f16 v26, v26, v155
	v_pk_fma_f16 v32, v156, v152, v33
	v_pk_fma_f16 v33, v26, v152, v151
	s_waitcnt vmcnt(7)
	v_mul_u32_u24_e32 v26, 0x10001, v162
	s_waitcnt vmcnt(6)
	v_pk_lshrrev_b16 v27, 8, v163 op_sel:[1,0] op_sel_hi:[0,0]
	v_lshrrev_b32_e32 v30, 16, v27
	v_cvt_f16_i16_sdwa v27, sext(v27) dst_sel:DWORD dst_unused:UNUSED_PAD src0_sel:BYTE_0
	v_cvt_f16_i16_sdwa v30, sext(v30) dst_sel:DWORD dst_unused:UNUSED_PAD src0_sel:BYTE_0
	v_pack_b32_f16 v27, v27, v30
	v_pk_lshrrev_b16 v30, 8, v163 op_sel:[1,1] op_sel_hi:[0,1]
	v_lshrrev_b32_e32 v31, 16, v30
	v_cvt_f16_i16_sdwa v30, sext(v30) dst_sel:DWORD dst_unused:UNUSED_PAD src0_sel:BYTE_0
	v_cvt_f16_i16_sdwa v31, sext(v31) dst_sel:DWORD dst_unused:UNUSED_PAD src0_sel:BYTE_0
	v_pk_mul_f16 v27, v27, v26
	v_pack_b32_f16 v30, v30, v31
	v_add_co_u32_e32 v156, vcc, s29, v106
	v_pk_mul_f16 v26, v30, v26
	v_pk_fma_f16 v151, v27, v28, v153
	s_waitcnt vmcnt(5)
	v_mul_u32_u24_e32 v153, 0x10001, v158
	v_addc_co_u32_e32 v158, vcc, v147, v107, vcc
	v_pk_fma_f16 v152, v26, v28, v154
	v_add_co_u32_e32 v26, vcc, v156, v148
	v_addc_co_u32_e32 v27, vcc, v158, v146, vcc
	v_add_co_u32_e32 v30, vcc, v26, v74
	s_waitcnt vmcnt(4)
	v_pk_lshrrev_b16 v154, 8, v160 op_sel:[1,0] op_sel_hi:[0,0]
	v_addc_co_u32_e32 v31, vcc, 0, v27, vcc
	global_load_ushort v161, v[26:27], off
	global_load_dword v162, v[30:31], off offset:2
	v_lshrrev_b32_e32 v155, 16, v154
	v_cvt_f16_i16_sdwa v26, sext(v154) dst_sel:DWORD dst_unused:UNUSED_PAD src0_sel:BYTE_0
	v_cvt_f16_i16_sdwa v27, sext(v155) dst_sel:DWORD dst_unused:UNUSED_PAD src0_sel:BYTE_0
	v_pack_b32_f16 v26, v26, v27
	v_pk_mul_f16 v154, v26, v153
	v_add_co_u32_e32 v26, vcc, v156, v150
	v_addc_co_u32_e32 v27, vcc, v158, v149, vcc
	v_add_co_u32_e32 v30, vcc, v26, v76
	v_pk_lshrrev_b16 v155, 8, v160 op_sel:[1,1] op_sel_hi:[0,1]
	v_addc_co_u32_e32 v31, vcc, 0, v27, vcc
	global_load_ushort v156, v[26:27], off
	global_load_dword v158, v[30:31], off offset:2
	v_lshrrev_b32_e32 v26, 16, v155
	v_cvt_f16_i16_sdwa v27, sext(v155) dst_sel:DWORD dst_unused:UNUSED_PAD src0_sel:BYTE_0
	v_cvt_f16_i16_sdwa v26, sext(v26) dst_sel:DWORD dst_unused:UNUSED_PAD src0_sel:BYTE_0
	v_pack_b32_f16 v26, v27, v26
	v_pk_mul_f16 v26, v26, v153
	v_pk_fma_f16 v32, v154, v28, v32
	v_pk_fma_f16 v28, v26, v28, v33
	v_mul_u32_u24_sdwa v33, v29, s51 dst_sel:DWORD dst_unused:UNUSED_PAD src0_sel:WORD_0 src1_sel:DWORD
	s_waitcnt vmcnt(7)
	v_mul_u32_u24_e32 v26, 0x10001, v164
	s_waitcnt vmcnt(6)
	v_pk_lshrrev_b16 v27, 8, v165 op_sel:[1,0] op_sel_hi:[0,0]
	v_lshrrev_b32_e32 v30, 16, v27
	v_cvt_f16_i16_sdwa v27, sext(v27) dst_sel:DWORD dst_unused:UNUSED_PAD src0_sel:BYTE_0
	v_cvt_f16_i16_sdwa v30, sext(v30) dst_sel:DWORD dst_unused:UNUSED_PAD src0_sel:BYTE_0
	v_pack_b32_f16 v27, v27, v30
	v_pk_lshrrev_b16 v30, 8, v165 op_sel:[1,1] op_sel_hi:[0,1]
	v_lshrrev_b32_e32 v31, 16, v30
	v_cvt_f16_i16_sdwa v30, sext(v30) dst_sel:DWORD dst_unused:UNUSED_PAD src0_sel:BYTE_0
	v_cvt_f16_i16_sdwa v31, sext(v31) dst_sel:DWORD dst_unused:UNUSED_PAD src0_sel:BYTE_0
	v_pack_b32_f16 v30, v30, v31
	v_pk_mul_f16 v27, v27, v26
	v_pk_mul_f16 v26, v30, v26
	v_pk_fma_f16 v152, v26, v33, v152
	s_waitcnt vmcnt(5)
	v_mul_u32_u24_e32 v153, 0x10001, v157
	v_add_co_u32_e32 v157, vcc, s29, v108
	v_addc_co_u32_e32 v160, vcc, v147, v109, vcc
	v_add_co_u32_e32 v26, vcc, v157, v148
	v_pk_fma_f16 v151, v27, v33, v151
	v_addc_co_u32_e32 v27, vcc, v160, v146, vcc
	v_add_co_u32_e32 v30, vcc, v26, v74
	s_waitcnt vmcnt(4)
	v_pk_lshrrev_b16 v154, 8, v159 op_sel:[1,0] op_sel_hi:[0,0]
	v_addc_co_u32_e32 v31, vcc, 0, v27, vcc
	global_load_ushort v163, v[26:27], off
	global_load_dword v164, v[30:31], off offset:2
	v_lshrrev_b32_e32 v155, 16, v154
	v_cvt_f16_i16_sdwa v26, sext(v154) dst_sel:DWORD dst_unused:UNUSED_PAD src0_sel:BYTE_0
	v_cvt_f16_i16_sdwa v27, sext(v155) dst_sel:DWORD dst_unused:UNUSED_PAD src0_sel:BYTE_0
	v_pack_b32_f16 v26, v26, v27
	v_pk_mul_f16 v154, v26, v153
	v_add_co_u32_e32 v26, vcc, v157, v150
	v_addc_co_u32_e32 v27, vcc, v160, v149, vcc
	v_add_co_u32_e32 v30, vcc, v26, v76
	v_addc_co_u32_e32 v31, vcc, 0, v27, vcc
	global_load_ushort v157, v[26:27], off
	s_nop 0
	global_load_dword v30, v[30:31], off offset:2
	v_pk_lshrrev_b16 v155, 8, v159 op_sel:[1,1] op_sel_hi:[0,1]
	v_lshrrev_b32_e32 v26, 16, v155
	v_cvt_f16_i16_sdwa v27, sext(v155) dst_sel:DWORD dst_unused:UNUSED_PAD src0_sel:BYTE_0
	v_cvt_f16_i16_sdwa v26, sext(v26) dst_sel:DWORD dst_unused:UNUSED_PAD src0_sel:BYTE_0
	v_pack_b32_f16 v26, v27, v26
	v_pk_mul_f16 v26, v26, v153
	v_pk_fma_f16 v31, v154, v33, v32
	v_pk_fma_f16 v32, v26, v33, v28
	v_mul_u32_u24_sdwa v33, v29, s51 dst_sel:DWORD dst_unused:UNUSED_PAD src0_sel:WORD_1 src1_sel:DWORD
	s_waitcnt vmcnt(6)
	v_pk_lshrrev_b16 v27, 8, v162 op_sel:[1,0] op_sel_hi:[0,0]
	v_lshrrev_b32_e32 v28, 16, v27
	v_cvt_f16_i16_sdwa v27, sext(v27) dst_sel:DWORD dst_unused:UNUSED_PAD src0_sel:BYTE_0
	v_cvt_f16_i16_sdwa v28, sext(v28) dst_sel:DWORD dst_unused:UNUSED_PAD src0_sel:BYTE_0
	v_pack_b32_f16 v27, v27, v28
	v_pk_lshrrev_b16 v28, 8, v162 op_sel:[1,1] op_sel_hi:[0,1]
	v_lshrrev_b32_e32 v29, 16, v28
	v_cvt_f16_i16_sdwa v28, sext(v28) dst_sel:DWORD dst_unused:UNUSED_PAD src0_sel:BYTE_0
	v_cvt_f16_i16_sdwa v29, sext(v29) dst_sel:DWORD dst_unused:UNUSED_PAD src0_sel:BYTE_0
	v_mul_u32_u24_e32 v26, 0x10001, v161
	v_pack_b32_f16 v28, v28, v29
	v_pk_mul_f16 v27, v27, v26
	v_pk_mul_f16 v26, v28, v26
	v_pk_fma_f16 v152, v26, v33, v152
	s_waitcnt vmcnt(5)
	v_mul_u32_u24_e32 v153, 0x10001, v156
	v_add_co_u32_e32 v156, vcc, s29, v110
	v_addc_co_u32_e32 v159, vcc, v147, v111, vcc
	v_add_co_u32_e32 v26, vcc, v156, v148
	v_pk_fma_f16 v151, v27, v33, v151
	v_addc_co_u32_e32 v27, vcc, v159, v146, vcc
	v_add_co_u32_e32 v28, vcc, v26, v74
	v_addc_co_u32_e32 v29, vcc, 0, v27, vcc
	global_load_ushort v160, v[26:27], off
	global_load_dword v161, v[28:29], off offset:2
	s_waitcnt vmcnt(6)
	v_pk_lshrrev_b16 v154, 8, v158 op_sel:[1,0] op_sel_hi:[0,0]
	v_lshrrev_b32_e32 v155, 16, v154
	v_cvt_f16_i16_sdwa v26, sext(v154) dst_sel:DWORD dst_unused:UNUSED_PAD src0_sel:BYTE_0
	v_cvt_f16_i16_sdwa v27, sext(v155) dst_sel:DWORD dst_unused:UNUSED_PAD src0_sel:BYTE_0
	v_pack_b32_f16 v26, v26, v27
	v_pk_mul_f16 v154, v26, v153
	v_add_co_u32_e32 v26, vcc, v156, v150
	v_addc_co_u32_e32 v27, vcc, v159, v149, vcc
	v_pk_lshrrev_b16 v155, 8, v158 op_sel:[1,1] op_sel_hi:[0,1]
	v_add_co_u32_e32 v28, vcc, v26, v76
	v_addc_co_u32_e32 v29, vcc, 0, v27, vcc
	global_load_ushort v156, v[26:27], off
	global_load_dword v158, v[28:29], off offset:2
	v_lshrrev_b32_e32 v26, 16, v155
	v_cvt_f16_i16_sdwa v27, sext(v155) dst_sel:DWORD dst_unused:UNUSED_PAD src0_sel:BYTE_0
	v_cvt_f16_i16_sdwa v26, sext(v26) dst_sel:DWORD dst_unused:UNUSED_PAD src0_sel:BYTE_0
	v_pack_b32_f16 v26, v27, v26
	v_pk_mul_f16 v26, v26, v153
	v_pk_fma_f16 v32, v26, v33, v32
	v_pk_fma_f16 v31, v154, v33, v31
	s_waitcnt lgkmcnt(1)
	v_mul_u32_u24_sdwa v33, v22, s51 dst_sel:DWORD dst_unused:UNUSED_PAD src0_sel:WORD_0 src1_sel:DWORD
	v_mul_u32_u24_sdwa v22, v22, s51 dst_sel:DWORD dst_unused:UNUSED_PAD src0_sel:WORD_1 src1_sel:DWORD
	s_waitcnt vmcnt(7)
	v_mul_u32_u24_e32 v26, 0x10001, v163
	s_waitcnt vmcnt(6)
	v_pk_lshrrev_b16 v27, 8, v164 op_sel:[1,0] op_sel_hi:[0,0]
	v_lshrrev_b32_e32 v28, 16, v27
	v_cvt_f16_i16_sdwa v27, sext(v27) dst_sel:DWORD dst_unused:UNUSED_PAD src0_sel:BYTE_0
	v_cvt_f16_i16_sdwa v28, sext(v28) dst_sel:DWORD dst_unused:UNUSED_PAD src0_sel:BYTE_0
	v_pack_b32_f16 v27, v27, v28
	v_pk_lshrrev_b16 v28, 8, v164 op_sel:[1,1] op_sel_hi:[0,1]
	v_lshrrev_b32_e32 v29, 16, v28
	v_cvt_f16_i16_sdwa v28, sext(v28) dst_sel:DWORD dst_unused:UNUSED_PAD src0_sel:BYTE_0
	v_cvt_f16_i16_sdwa v29, sext(v29) dst_sel:DWORD dst_unused:UNUSED_PAD src0_sel:BYTE_0
	v_pack_b32_f16 v28, v28, v29
	v_pk_mul_f16 v27, v27, v26
	v_pk_mul_f16 v26, v28, v26
	v_pk_fma_f16 v152, v26, v33, v152
	s_waitcnt vmcnt(5)
	v_mul_u32_u24_e32 v153, 0x10001, v157
	v_add_co_u32_e32 v157, vcc, s29, v112
	v_addc_co_u32_e32 v159, vcc, v147, v113, vcc
	v_add_co_u32_e32 v26, vcc, v157, v148
	v_pk_fma_f16 v151, v27, v33, v151
	v_addc_co_u32_e32 v27, vcc, v159, v146, vcc
	v_add_co_u32_e32 v28, vcc, v26, v74
	s_waitcnt vmcnt(4)
	v_pk_lshrrev_b16 v154, 8, v30 op_sel:[1,0] op_sel_hi:[0,0]
	v_addc_co_u32_e32 v29, vcc, 0, v27, vcc
	global_load_ushort v162, v[26:27], off
	global_load_dword v163, v[28:29], off offset:2
	v_lshrrev_b32_e32 v155, 16, v154
	v_cvt_f16_i16_sdwa v26, sext(v154) dst_sel:DWORD dst_unused:UNUSED_PAD src0_sel:BYTE_0
	v_cvt_f16_i16_sdwa v27, sext(v155) dst_sel:DWORD dst_unused:UNUSED_PAD src0_sel:BYTE_0
	v_pack_b32_f16 v26, v26, v27
	v_pk_mul_f16 v154, v26, v153
	v_add_co_u32_e32 v26, vcc, v157, v150
	v_addc_co_u32_e32 v27, vcc, v159, v149, vcc
	v_add_co_u32_e32 v28, vcc, v26, v76
	v_addc_co_u32_e32 v29, vcc, 0, v27, vcc
	global_load_ushort v155, v[26:27], off
	global_load_dword v157, v[28:29], off offset:2
	v_pk_lshrrev_b16 v30, 8, v30 op_sel:[1,1] op_sel_hi:[0,1]
	v_lshrrev_b32_e32 v26, 16, v30
	v_cvt_f16_i16_sdwa v27, sext(v30) dst_sel:DWORD dst_unused:UNUSED_PAD src0_sel:BYTE_0
	v_cvt_f16_i16_sdwa v26, sext(v26) dst_sel:DWORD dst_unused:UNUSED_PAD src0_sel:BYTE_0
	v_pack_b32_f16 v26, v27, v26
	v_pk_mul_f16 v26, v26, v153
	v_pk_fma_f16 v30, v154, v33, v31
	v_pk_fma_f16 v31, v26, v33, v32
	s_waitcnt vmcnt(7)
	v_mul_u32_u24_e32 v26, 0x10001, v160
	s_waitcnt vmcnt(6)
	v_pk_lshrrev_b16 v27, 8, v161 op_sel:[1,0] op_sel_hi:[0,0]
	v_lshrrev_b32_e32 v28, 16, v27
	v_cvt_f16_i16_sdwa v27, sext(v27) dst_sel:DWORD dst_unused:UNUSED_PAD src0_sel:BYTE_0
	v_cvt_f16_i16_sdwa v28, sext(v28) dst_sel:DWORD dst_unused:UNUSED_PAD src0_sel:BYTE_0
	v_pack_b32_f16 v27, v27, v28
	v_pk_lshrrev_b16 v28, 8, v161 op_sel:[1,1] op_sel_hi:[0,1]
	v_lshrrev_b32_e32 v29, 16, v28
	v_cvt_f16_i16_sdwa v28, sext(v28) dst_sel:DWORD dst_unused:UNUSED_PAD src0_sel:BYTE_0
	v_cvt_f16_i16_sdwa v29, sext(v29) dst_sel:DWORD dst_unused:UNUSED_PAD src0_sel:BYTE_0
	v_pk_mul_f16 v27, v27, v26
	v_pack_b32_f16 v28, v28, v29
	v_add_co_u32_e32 v154, vcc, s29, v114
	v_pk_mul_f16 v26, v28, v26
	v_pk_fma_f16 v32, v27, v22, v151
	s_waitcnt vmcnt(5)
	v_mul_u32_u24_e32 v151, 0x10001, v156
	v_addc_co_u32_e32 v156, vcc, v147, v115, vcc
	v_pk_fma_f16 v33, v26, v22, v152
	v_add_co_u32_e32 v26, vcc, v154, v148
	v_addc_co_u32_e32 v27, vcc, v156, v146, vcc
	v_add_co_u32_e32 v28, vcc, v26, v74
	s_waitcnt vmcnt(4)
	v_pk_lshrrev_b16 v152, 8, v158 op_sel:[1,0] op_sel_hi:[0,0]
	v_addc_co_u32_e32 v29, vcc, 0, v27, vcc
	global_load_ushort v159, v[26:27], off
	global_load_dword v160, v[28:29], off offset:2
	v_lshrrev_b32_e32 v153, 16, v152
	v_cvt_f16_i16_sdwa v26, sext(v152) dst_sel:DWORD dst_unused:UNUSED_PAD src0_sel:BYTE_0
	v_cvt_f16_i16_sdwa v27, sext(v153) dst_sel:DWORD dst_unused:UNUSED_PAD src0_sel:BYTE_0
	v_pack_b32_f16 v26, v26, v27
	v_pk_mul_f16 v152, v26, v151
	v_add_co_u32_e32 v26, vcc, v154, v150
	v_addc_co_u32_e32 v27, vcc, v156, v149, vcc
	v_add_co_u32_e32 v28, vcc, v26, v76
	v_pk_lshrrev_b16 v153, 8, v158 op_sel:[1,1] op_sel_hi:[0,1]
	v_addc_co_u32_e32 v29, vcc, 0, v27, vcc
	global_load_ushort v154, v[26:27], off
	global_load_dword v156, v[28:29], off offset:2
	v_lshrrev_b32_e32 v26, 16, v153
	v_cvt_f16_i16_sdwa v27, sext(v153) dst_sel:DWORD dst_unused:UNUSED_PAD src0_sel:BYTE_0
	v_cvt_f16_i16_sdwa v26, sext(v26) dst_sel:DWORD dst_unused:UNUSED_PAD src0_sel:BYTE_0
	v_pack_b32_f16 v26, v27, v26
	v_pk_mul_f16 v26, v26, v151
	v_pk_fma_f16 v30, v152, v22, v30
	v_pk_fma_f16 v22, v26, v22, v31
	v_mul_u32_u24_sdwa v31, v23, s51 dst_sel:DWORD dst_unused:UNUSED_PAD src0_sel:WORD_0 src1_sel:DWORD
	s_waitcnt vmcnt(7)
	v_mul_u32_u24_e32 v26, 0x10001, v162
	s_waitcnt vmcnt(6)
	v_pk_lshrrev_b16 v27, 8, v163 op_sel:[1,0] op_sel_hi:[0,0]
	v_lshrrev_b32_e32 v28, 16, v27
	v_cvt_f16_i16_sdwa v27, sext(v27) dst_sel:DWORD dst_unused:UNUSED_PAD src0_sel:BYTE_0
	v_cvt_f16_i16_sdwa v28, sext(v28) dst_sel:DWORD dst_unused:UNUSED_PAD src0_sel:BYTE_0
	v_pack_b32_f16 v27, v27, v28
	v_pk_lshrrev_b16 v28, 8, v163 op_sel:[1,1] op_sel_hi:[0,1]
	v_lshrrev_b32_e32 v29, 16, v28
	v_cvt_f16_i16_sdwa v28, sext(v28) dst_sel:DWORD dst_unused:UNUSED_PAD src0_sel:BYTE_0
	v_cvt_f16_i16_sdwa v29, sext(v29) dst_sel:DWORD dst_unused:UNUSED_PAD src0_sel:BYTE_0
	v_pack_b32_f16 v28, v28, v29
	v_pk_mul_f16 v27, v27, v26
	v_pk_mul_f16 v26, v28, v26
	v_pk_fma_f16 v33, v26, v31, v33
	s_waitcnt vmcnt(5)
	v_mul_u32_u24_e32 v151, 0x10001, v155
	v_add_co_u32_e32 v155, vcc, s29, v116
	v_addc_co_u32_e32 v158, vcc, v147, v117, vcc
	v_add_co_u32_e32 v26, vcc, v155, v148
	v_pk_fma_f16 v32, v27, v31, v32
	v_addc_co_u32_e32 v27, vcc, v158, v146, vcc
	v_add_co_u32_e32 v28, vcc, v26, v74
	s_waitcnt vmcnt(4)
	v_pk_lshrrev_b16 v152, 8, v157 op_sel:[1,0] op_sel_hi:[0,0]
	v_addc_co_u32_e32 v29, vcc, 0, v27, vcc
	global_load_ushort v161, v[26:27], off
	global_load_dword v162, v[28:29], off offset:2
	v_lshrrev_b32_e32 v153, 16, v152
	v_cvt_f16_i16_sdwa v26, sext(v152) dst_sel:DWORD dst_unused:UNUSED_PAD src0_sel:BYTE_0
	v_cvt_f16_i16_sdwa v27, sext(v153) dst_sel:DWORD dst_unused:UNUSED_PAD src0_sel:BYTE_0
	v_pack_b32_f16 v26, v26, v27
	v_pk_mul_f16 v152, v26, v151
	v_add_co_u32_e32 v26, vcc, v155, v150
	v_addc_co_u32_e32 v27, vcc, v158, v149, vcc
	v_add_co_u32_e32 v28, vcc, v26, v76
	v_addc_co_u32_e32 v29, vcc, 0, v27, vcc
	global_load_ushort v155, v[26:27], off
	s_nop 0
	global_load_dword v28, v[28:29], off offset:2
	v_pk_lshrrev_b16 v153, 8, v157 op_sel:[1,1] op_sel_hi:[0,1]
	v_lshrrev_b32_e32 v26, 16, v153
	v_cvt_f16_i16_sdwa v27, sext(v153) dst_sel:DWORD dst_unused:UNUSED_PAD src0_sel:BYTE_0
	v_cvt_f16_i16_sdwa v26, sext(v26) dst_sel:DWORD dst_unused:UNUSED_PAD src0_sel:BYTE_0
	v_pack_b32_f16 v26, v27, v26
	v_pk_mul_f16 v26, v26, v151
	v_pk_fma_f16 v29, v152, v31, v30
	v_pk_fma_f16 v30, v26, v31, v22
	v_mul_u32_u24_sdwa v31, v23, s51 dst_sel:DWORD dst_unused:UNUSED_PAD src0_sel:WORD_1 src1_sel:DWORD
	s_waitcnt vmcnt(6)
	v_pk_lshrrev_b16 v23, 8, v160 op_sel:[1,0] op_sel_hi:[0,0]
	v_lshrrev_b32_e32 v26, 16, v23
	v_cvt_f16_i16_sdwa v23, sext(v23) dst_sel:DWORD dst_unused:UNUSED_PAD src0_sel:BYTE_0
	v_cvt_f16_i16_sdwa v26, sext(v26) dst_sel:DWORD dst_unused:UNUSED_PAD src0_sel:BYTE_0
	v_pack_b32_f16 v23, v23, v26
	v_pk_lshrrev_b16 v26, 8, v160 op_sel:[1,1] op_sel_hi:[0,1]
	v_lshrrev_b32_e32 v27, 16, v26
	v_cvt_f16_i16_sdwa v26, sext(v26) dst_sel:DWORD dst_unused:UNUSED_PAD src0_sel:BYTE_0
	v_cvt_f16_i16_sdwa v27, sext(v27) dst_sel:DWORD dst_unused:UNUSED_PAD src0_sel:BYTE_0
	v_mul_u32_u24_e32 v22, 0x10001, v159
	v_pack_b32_f16 v26, v26, v27
	v_pk_mul_f16 v23, v23, v22
	v_pk_mul_f16 v22, v26, v22
	v_pk_fma_f16 v33, v22, v31, v33
	s_waitcnt vmcnt(5)
	v_mul_u32_u24_e32 v151, 0x10001, v154
	v_add_co_u32_e32 v154, vcc, s29, v118
	v_addc_co_u32_e32 v157, vcc, v147, v119, vcc
	v_add_co_u32_e32 v22, vcc, v154, v148
	v_pk_fma_f16 v32, v23, v31, v32
	v_addc_co_u32_e32 v23, vcc, v157, v146, vcc
	v_add_co_u32_e32 v26, vcc, v22, v74
	v_addc_co_u32_e32 v27, vcc, 0, v23, vcc
	global_load_ushort v158, v[22:23], off
	global_load_dword v159, v[26:27], off offset:2
	s_waitcnt vmcnt(6)
	v_pk_lshrrev_b16 v152, 8, v156 op_sel:[1,0] op_sel_hi:[0,0]
	v_lshrrev_b32_e32 v153, 16, v152
	v_cvt_f16_i16_sdwa v22, sext(v152) dst_sel:DWORD dst_unused:UNUSED_PAD src0_sel:BYTE_0
	v_cvt_f16_i16_sdwa v23, sext(v153) dst_sel:DWORD dst_unused:UNUSED_PAD src0_sel:BYTE_0
	v_pack_b32_f16 v22, v22, v23
	v_pk_mul_f16 v152, v22, v151
	v_add_co_u32_e32 v22, vcc, v154, v150
	v_addc_co_u32_e32 v23, vcc, v157, v149, vcc
	v_pk_lshrrev_b16 v153, 8, v156 op_sel:[1,1] op_sel_hi:[0,1]
	v_add_co_u32_e32 v26, vcc, v22, v76
	v_addc_co_u32_e32 v27, vcc, 0, v23, vcc
	global_load_ushort v154, v[22:23], off
	global_load_dword v156, v[26:27], off offset:2
	v_lshrrev_b32_e32 v22, 16, v153
	v_cvt_f16_i16_sdwa v23, sext(v153) dst_sel:DWORD dst_unused:UNUSED_PAD src0_sel:BYTE_0
	v_cvt_f16_i16_sdwa v22, sext(v22) dst_sel:DWORD dst_unused:UNUSED_PAD src0_sel:BYTE_0
	v_pack_b32_f16 v22, v23, v22
	v_pk_mul_f16 v22, v22, v151
	v_pk_fma_f16 v30, v22, v31, v30
	v_pk_fma_f16 v29, v152, v31, v29
	v_mul_u32_u24_sdwa v31, v24, s51 dst_sel:DWORD dst_unused:UNUSED_PAD src0_sel:WORD_0 src1_sel:DWORD
	v_mul_u32_u24_sdwa v24, v24, s51 dst_sel:DWORD dst_unused:UNUSED_PAD src0_sel:WORD_1 src1_sel:DWORD
	s_waitcnt vmcnt(7)
	v_mul_u32_u24_e32 v22, 0x10001, v161
	s_waitcnt vmcnt(6)
	v_pk_lshrrev_b16 v23, 8, v162 op_sel:[1,0] op_sel_hi:[0,0]
	v_lshrrev_b32_e32 v26, 16, v23
	v_cvt_f16_i16_sdwa v23, sext(v23) dst_sel:DWORD dst_unused:UNUSED_PAD src0_sel:BYTE_0
	v_cvt_f16_i16_sdwa v26, sext(v26) dst_sel:DWORD dst_unused:UNUSED_PAD src0_sel:BYTE_0
	v_pack_b32_f16 v23, v23, v26
	v_pk_lshrrev_b16 v26, 8, v162 op_sel:[1,1] op_sel_hi:[0,1]
	v_lshrrev_b32_e32 v27, 16, v26
	v_cvt_f16_i16_sdwa v26, sext(v26) dst_sel:DWORD dst_unused:UNUSED_PAD src0_sel:BYTE_0
	v_cvt_f16_i16_sdwa v27, sext(v27) dst_sel:DWORD dst_unused:UNUSED_PAD src0_sel:BYTE_0
	v_pack_b32_f16 v26, v26, v27
	v_pk_mul_f16 v23, v23, v22
	v_pk_mul_f16 v22, v26, v22
	v_pk_fma_f16 v33, v22, v31, v33
	s_waitcnt vmcnt(5)
	v_mul_u32_u24_e32 v151, 0x10001, v155
	v_add_co_u32_e32 v155, vcc, s29, v120
	v_addc_co_u32_e32 v157, vcc, v147, v121, vcc
	v_add_co_u32_e32 v22, vcc, v155, v148
	v_pk_fma_f16 v32, v23, v31, v32
	v_addc_co_u32_e32 v23, vcc, v157, v146, vcc
	v_add_co_u32_e32 v26, vcc, v22, v74
	s_waitcnt vmcnt(4)
	v_pk_lshrrev_b16 v152, 8, v28 op_sel:[1,0] op_sel_hi:[0,0]
	v_addc_co_u32_e32 v27, vcc, 0, v23, vcc
	global_load_ushort v160, v[22:23], off
	global_load_dword v161, v[26:27], off offset:2
	v_lshrrev_b32_e32 v153, 16, v152
	v_cvt_f16_i16_sdwa v22, sext(v152) dst_sel:DWORD dst_unused:UNUSED_PAD src0_sel:BYTE_0
	v_cvt_f16_i16_sdwa v23, sext(v153) dst_sel:DWORD dst_unused:UNUSED_PAD src0_sel:BYTE_0
	v_pack_b32_f16 v22, v22, v23
	v_pk_mul_f16 v152, v22, v151
	v_add_co_u32_e32 v22, vcc, v155, v150
	v_addc_co_u32_e32 v23, vcc, v157, v149, vcc
	v_add_co_u32_e32 v26, vcc, v22, v76
	v_addc_co_u32_e32 v27, vcc, 0, v23, vcc
	global_load_ushort v153, v[22:23], off
	global_load_dword v155, v[26:27], off offset:2
	v_pk_lshrrev_b16 v28, 8, v28 op_sel:[1,1] op_sel_hi:[0,1]
	v_lshrrev_b32_e32 v22, 16, v28
	v_cvt_f16_i16_sdwa v23, sext(v28) dst_sel:DWORD dst_unused:UNUSED_PAD src0_sel:BYTE_0
	v_cvt_f16_i16_sdwa v22, sext(v22) dst_sel:DWORD dst_unused:UNUSED_PAD src0_sel:BYTE_0
	v_pack_b32_f16 v22, v23, v22
	v_pk_mul_f16 v22, v22, v151
	v_pk_fma_f16 v28, v152, v31, v29
	v_pk_fma_f16 v29, v22, v31, v30
	s_waitcnt vmcnt(7)
	v_mul_u32_u24_e32 v22, 0x10001, v158
	s_waitcnt vmcnt(6)
	v_pk_lshrrev_b16 v23, 8, v159 op_sel:[1,0] op_sel_hi:[0,0]
	v_lshrrev_b32_e32 v26, 16, v23
	v_cvt_f16_i16_sdwa v23, sext(v23) dst_sel:DWORD dst_unused:UNUSED_PAD src0_sel:BYTE_0
	v_cvt_f16_i16_sdwa v26, sext(v26) dst_sel:DWORD dst_unused:UNUSED_PAD src0_sel:BYTE_0
	v_pack_b32_f16 v23, v23, v26
	v_pk_lshrrev_b16 v26, 8, v159 op_sel:[1,1] op_sel_hi:[0,1]
	v_lshrrev_b32_e32 v27, 16, v26
	v_cvt_f16_i16_sdwa v26, sext(v26) dst_sel:DWORD dst_unused:UNUSED_PAD src0_sel:BYTE_0
	v_cvt_f16_i16_sdwa v27, sext(v27) dst_sel:DWORD dst_unused:UNUSED_PAD src0_sel:BYTE_0
	v_pk_mul_f16 v23, v23, v22
	v_pack_b32_f16 v26, v26, v27
	v_add_co_u32_e32 v152, vcc, s29, v122
	v_pk_mul_f16 v22, v26, v22
	v_pk_fma_f16 v30, v23, v24, v32
	s_waitcnt vmcnt(5)
	v_mul_u32_u24_e32 v32, 0x10001, v154
	v_addc_co_u32_e32 v154, vcc, v147, v123, vcc
	v_pk_fma_f16 v31, v22, v24, v33
	v_add_co_u32_e32 v22, vcc, v152, v148
	v_addc_co_u32_e32 v23, vcc, v154, v146, vcc
	v_add_co_u32_e32 v26, vcc, v22, v74
	s_waitcnt vmcnt(4)
	v_pk_lshrrev_b16 v33, 8, v156 op_sel:[1,0] op_sel_hi:[0,0]
	v_addc_co_u32_e32 v27, vcc, 0, v23, vcc
	global_load_ushort v157, v[22:23], off
	global_load_dword v158, v[26:27], off offset:2
	v_lshrrev_b32_e32 v151, 16, v33
	v_cvt_f16_i16_sdwa v22, sext(v33) dst_sel:DWORD dst_unused:UNUSED_PAD src0_sel:BYTE_0
	v_cvt_f16_i16_sdwa v23, sext(v151) dst_sel:DWORD dst_unused:UNUSED_PAD src0_sel:BYTE_0
	v_pack_b32_f16 v22, v22, v23
	v_pk_mul_f16 v33, v22, v32
	v_add_co_u32_e32 v22, vcc, v152, v150
	v_addc_co_u32_e32 v23, vcc, v154, v149, vcc
	v_add_co_u32_e32 v26, vcc, v22, v76
	v_pk_lshrrev_b16 v151, 8, v156 op_sel:[1,1] op_sel_hi:[0,1]
	v_addc_co_u32_e32 v27, vcc, 0, v23, vcc
	global_load_ushort v152, v[22:23], off
	global_load_dword v154, v[26:27], off offset:2
	v_lshrrev_b32_e32 v22, 16, v151
	v_cvt_f16_i16_sdwa v23, sext(v151) dst_sel:DWORD dst_unused:UNUSED_PAD src0_sel:BYTE_0
	v_cvt_f16_i16_sdwa v22, sext(v22) dst_sel:DWORD dst_unused:UNUSED_PAD src0_sel:BYTE_0
	v_pack_b32_f16 v22, v23, v22
	v_pk_mul_f16 v22, v22, v32
	v_pk_fma_f16 v28, v33, v24, v28
	v_pk_fma_f16 v24, v22, v24, v29
	v_mul_u32_u24_sdwa v29, v25, s51 dst_sel:DWORD dst_unused:UNUSED_PAD src0_sel:WORD_0 src1_sel:DWORD
	s_waitcnt vmcnt(7)
	v_mul_u32_u24_e32 v22, 0x10001, v160
	s_waitcnt vmcnt(6)
	v_pk_lshrrev_b16 v23, 8, v161 op_sel:[1,0] op_sel_hi:[0,0]
	v_lshrrev_b32_e32 v26, 16, v23
	v_cvt_f16_i16_sdwa v23, sext(v23) dst_sel:DWORD dst_unused:UNUSED_PAD src0_sel:BYTE_0
	v_cvt_f16_i16_sdwa v26, sext(v26) dst_sel:DWORD dst_unused:UNUSED_PAD src0_sel:BYTE_0
	v_pack_b32_f16 v23, v23, v26
	v_pk_lshrrev_b16 v26, 8, v161 op_sel:[1,1] op_sel_hi:[0,1]
	v_lshrrev_b32_e32 v27, 16, v26
	v_cvt_f16_i16_sdwa v26, sext(v26) dst_sel:DWORD dst_unused:UNUSED_PAD src0_sel:BYTE_0
	v_cvt_f16_i16_sdwa v27, sext(v27) dst_sel:DWORD dst_unused:UNUSED_PAD src0_sel:BYTE_0
	v_pack_b32_f16 v26, v26, v27
	v_pk_mul_f16 v23, v23, v22
	v_pk_mul_f16 v22, v26, v22
	v_pk_fma_f16 v31, v22, v29, v31
	s_waitcnt vmcnt(5)
	v_mul_u32_u24_e32 v32, 0x10001, v153
	v_add_co_u32_e32 v153, vcc, s29, v124
	v_addc_co_u32_e32 v156, vcc, v147, v125, vcc
	v_add_co_u32_e32 v22, vcc, v153, v148
	v_pk_fma_f16 v30, v23, v29, v30
	v_addc_co_u32_e32 v23, vcc, v156, v146, vcc
	v_add_co_u32_e32 v26, vcc, v22, v74
	s_waitcnt vmcnt(4)
	v_pk_lshrrev_b16 v33, 8, v155 op_sel:[1,0] op_sel_hi:[0,0]
	v_addc_co_u32_e32 v27, vcc, 0, v23, vcc
	global_load_ushort v159, v[22:23], off
	global_load_dword v160, v[26:27], off offset:2
	v_lshrrev_b32_e32 v151, 16, v33
	v_cvt_f16_i16_sdwa v22, sext(v33) dst_sel:DWORD dst_unused:UNUSED_PAD src0_sel:BYTE_0
	v_cvt_f16_i16_sdwa v23, sext(v151) dst_sel:DWORD dst_unused:UNUSED_PAD src0_sel:BYTE_0
	v_pack_b32_f16 v22, v22, v23
	v_pk_mul_f16 v33, v22, v32
	v_add_co_u32_e32 v22, vcc, v153, v150
	v_addc_co_u32_e32 v23, vcc, v156, v149, vcc
	v_add_co_u32_e32 v26, vcc, v22, v76
	v_addc_co_u32_e32 v27, vcc, 0, v23, vcc
	global_load_ushort v153, v[22:23], off
	s_nop 0
	global_load_dword v26, v[26:27], off offset:2
	v_pk_lshrrev_b16 v151, 8, v155 op_sel:[1,1] op_sel_hi:[0,1]
	v_lshrrev_b32_e32 v22, 16, v151
	v_cvt_f16_i16_sdwa v23, sext(v151) dst_sel:DWORD dst_unused:UNUSED_PAD src0_sel:BYTE_0
	v_cvt_f16_i16_sdwa v22, sext(v22) dst_sel:DWORD dst_unused:UNUSED_PAD src0_sel:BYTE_0
	v_pack_b32_f16 v22, v23, v22
	v_pk_mul_f16 v22, v22, v32
	v_pk_fma_f16 v27, v33, v29, v28
	v_pk_fma_f16 v28, v22, v29, v24
	v_mul_u32_u24_sdwa v29, v25, s51 dst_sel:DWORD dst_unused:UNUSED_PAD src0_sel:WORD_1 src1_sel:DWORD
	s_waitcnt vmcnt(6)
	v_pk_lshrrev_b16 v23, 8, v158 op_sel:[1,0] op_sel_hi:[0,0]
	v_lshrrev_b32_e32 v24, 16, v23
	v_cvt_f16_i16_sdwa v23, sext(v23) dst_sel:DWORD dst_unused:UNUSED_PAD src0_sel:BYTE_0
	v_cvt_f16_i16_sdwa v24, sext(v24) dst_sel:DWORD dst_unused:UNUSED_PAD src0_sel:BYTE_0
	v_pack_b32_f16 v23, v23, v24
	v_pk_lshrrev_b16 v24, 8, v158 op_sel:[1,1] op_sel_hi:[0,1]
	v_lshrrev_b32_e32 v25, 16, v24
	v_cvt_f16_i16_sdwa v24, sext(v24) dst_sel:DWORD dst_unused:UNUSED_PAD src0_sel:BYTE_0
	v_cvt_f16_i16_sdwa v25, sext(v25) dst_sel:DWORD dst_unused:UNUSED_PAD src0_sel:BYTE_0
	v_mul_u32_u24_e32 v22, 0x10001, v157
	v_pack_b32_f16 v24, v24, v25
	v_pk_mul_f16 v23, v23, v22
	v_pk_mul_f16 v22, v24, v22
	v_pk_fma_f16 v31, v22, v29, v31
	s_waitcnt vmcnt(5)
	v_mul_u32_u24_e32 v32, 0x10001, v152
	v_add_co_u32_e32 v152, vcc, s29, v126
	v_addc_co_u32_e32 v155, vcc, v147, v127, vcc
	v_add_co_u32_e32 v22, vcc, v152, v148
	v_pk_fma_f16 v30, v23, v29, v30
	v_addc_co_u32_e32 v23, vcc, v155, v146, vcc
	v_add_co_u32_e32 v24, vcc, v22, v74
	v_addc_co_u32_e32 v25, vcc, 0, v23, vcc
	global_load_ushort v156, v[22:23], off
	global_load_dword v157, v[24:25], off offset:2
	s_waitcnt vmcnt(6)
	v_pk_lshrrev_b16 v33, 8, v154 op_sel:[1,0] op_sel_hi:[0,0]
	v_lshrrev_b32_e32 v151, 16, v33
	v_cvt_f16_i16_sdwa v22, sext(v33) dst_sel:DWORD dst_unused:UNUSED_PAD src0_sel:BYTE_0
	v_cvt_f16_i16_sdwa v23, sext(v151) dst_sel:DWORD dst_unused:UNUSED_PAD src0_sel:BYTE_0
	v_pack_b32_f16 v22, v22, v23
	v_pk_mul_f16 v33, v22, v32
	v_add_co_u32_e32 v22, vcc, v152, v150
	v_addc_co_u32_e32 v23, vcc, v155, v149, vcc
	v_pk_lshrrev_b16 v151, 8, v154 op_sel:[1,1] op_sel_hi:[0,1]
	v_add_co_u32_e32 v24, vcc, v22, v76
	v_addc_co_u32_e32 v25, vcc, 0, v23, vcc
	global_load_ushort v152, v[22:23], off
	global_load_dword v154, v[24:25], off offset:2
	v_lshrrev_b32_e32 v22, 16, v151
	v_cvt_f16_i16_sdwa v23, sext(v151) dst_sel:DWORD dst_unused:UNUSED_PAD src0_sel:BYTE_0
	v_cvt_f16_i16_sdwa v22, sext(v22) dst_sel:DWORD dst_unused:UNUSED_PAD src0_sel:BYTE_0
	v_pack_b32_f16 v22, v23, v22
	v_pk_mul_f16 v22, v22, v32
	v_pk_fma_f16 v28, v22, v29, v28
	v_pk_fma_f16 v27, v33, v29, v27
	s_waitcnt lgkmcnt(0)
	v_mul_u32_u24_sdwa v29, v18, s51 dst_sel:DWORD dst_unused:UNUSED_PAD src0_sel:WORD_0 src1_sel:DWORD
	v_mul_u32_u24_sdwa v18, v18, s51 dst_sel:DWORD dst_unused:UNUSED_PAD src0_sel:WORD_1 src1_sel:DWORD
	s_waitcnt vmcnt(7)
	v_mul_u32_u24_e32 v22, 0x10001, v159
	s_waitcnt vmcnt(6)
	v_pk_lshrrev_b16 v23, 8, v160 op_sel:[1,0] op_sel_hi:[0,0]
	v_lshrrev_b32_e32 v24, 16, v23
	v_cvt_f16_i16_sdwa v23, sext(v23) dst_sel:DWORD dst_unused:UNUSED_PAD src0_sel:BYTE_0
	v_cvt_f16_i16_sdwa v24, sext(v24) dst_sel:DWORD dst_unused:UNUSED_PAD src0_sel:BYTE_0
	v_pack_b32_f16 v23, v23, v24
	v_pk_lshrrev_b16 v24, 8, v160 op_sel:[1,1] op_sel_hi:[0,1]
	v_lshrrev_b32_e32 v25, 16, v24
	v_cvt_f16_i16_sdwa v24, sext(v24) dst_sel:DWORD dst_unused:UNUSED_PAD src0_sel:BYTE_0
	v_cvt_f16_i16_sdwa v25, sext(v25) dst_sel:DWORD dst_unused:UNUSED_PAD src0_sel:BYTE_0
	v_pack_b32_f16 v24, v24, v25
	v_pk_mul_f16 v23, v23, v22
	v_pk_mul_f16 v22, v24, v22
	v_pk_fma_f16 v31, v22, v29, v31
	s_waitcnt vmcnt(5)
	v_mul_u32_u24_e32 v32, 0x10001, v153
	v_add_co_u32_e32 v153, vcc, s29, v128
	v_addc_co_u32_e32 v155, vcc, v147, v129, vcc
	v_add_co_u32_e32 v22, vcc, v153, v148
	v_pk_fma_f16 v30, v23, v29, v30
	v_addc_co_u32_e32 v23, vcc, v155, v146, vcc
	v_add_co_u32_e32 v24, vcc, v22, v74
	s_waitcnt vmcnt(4)
	v_pk_lshrrev_b16 v33, 8, v26 op_sel:[1,0] op_sel_hi:[0,0]
	v_addc_co_u32_e32 v25, vcc, 0, v23, vcc
	global_load_ushort v158, v[22:23], off
	global_load_dword v159, v[24:25], off offset:2
	v_lshrrev_b32_e32 v151, 16, v33
	v_cvt_f16_i16_sdwa v22, sext(v33) dst_sel:DWORD dst_unused:UNUSED_PAD src0_sel:BYTE_0
	v_cvt_f16_i16_sdwa v23, sext(v151) dst_sel:DWORD dst_unused:UNUSED_PAD src0_sel:BYTE_0
	v_pack_b32_f16 v22, v22, v23
	v_pk_mul_f16 v33, v22, v32
	v_add_co_u32_e32 v22, vcc, v153, v150
	v_addc_co_u32_e32 v23, vcc, v155, v149, vcc
	v_add_co_u32_e32 v24, vcc, v22, v76
	v_addc_co_u32_e32 v25, vcc, 0, v23, vcc
	global_load_ushort v151, v[22:23], off
	global_load_dword v153, v[24:25], off offset:2
	v_pk_lshrrev_b16 v26, 8, v26 op_sel:[1,1] op_sel_hi:[0,1]
	v_lshrrev_b32_e32 v22, 16, v26
	v_cvt_f16_i16_sdwa v23, sext(v26) dst_sel:DWORD dst_unused:UNUSED_PAD src0_sel:BYTE_0
	v_cvt_f16_i16_sdwa v22, sext(v22) dst_sel:DWORD dst_unused:UNUSED_PAD src0_sel:BYTE_0
	v_pack_b32_f16 v22, v23, v22
	v_pk_mul_f16 v22, v22, v32
	v_pk_fma_f16 v26, v33, v29, v27
	v_pk_fma_f16 v27, v22, v29, v28
	s_waitcnt vmcnt(7)
	v_mul_u32_u24_e32 v22, 0x10001, v156
	s_waitcnt vmcnt(6)
	v_pk_lshrrev_b16 v23, 8, v157 op_sel:[1,0] op_sel_hi:[0,0]
	v_lshrrev_b32_e32 v24, 16, v23
	v_cvt_f16_i16_sdwa v23, sext(v23) dst_sel:DWORD dst_unused:UNUSED_PAD src0_sel:BYTE_0
	v_cvt_f16_i16_sdwa v24, sext(v24) dst_sel:DWORD dst_unused:UNUSED_PAD src0_sel:BYTE_0
	v_pack_b32_f16 v23, v23, v24
	v_pk_lshrrev_b16 v24, 8, v157 op_sel:[1,1] op_sel_hi:[0,1]
	v_lshrrev_b32_e32 v25, 16, v24
	v_cvt_f16_i16_sdwa v24, sext(v24) dst_sel:DWORD dst_unused:UNUSED_PAD src0_sel:BYTE_0
	v_cvt_f16_i16_sdwa v25, sext(v25) dst_sel:DWORD dst_unused:UNUSED_PAD src0_sel:BYTE_0
	v_pk_mul_f16 v23, v23, v22
	v_pack_b32_f16 v24, v24, v25
	v_add_co_u32_e32 v33, vcc, s29, v130
	v_pk_mul_f16 v22, v24, v22
	v_pk_fma_f16 v28, v23, v18, v30
	s_waitcnt vmcnt(5)
	v_mul_u32_u24_e32 v30, 0x10001, v152
	v_addc_co_u32_e32 v152, vcc, v147, v131, vcc
	v_pk_fma_f16 v29, v22, v18, v31
	v_add_co_u32_e32 v22, vcc, v33, v148
	v_addc_co_u32_e32 v23, vcc, v152, v146, vcc
	s_waitcnt vmcnt(4)
	v_pk_lshrrev_b16 v31, 8, v154 op_sel:[1,0] op_sel_hi:[0,0]
	v_add_co_u32_e32 v24, vcc, v22, v74
	v_lshrrev_b32_e32 v32, 16, v31
	v_addc_co_u32_e32 v25, vcc, 0, v23, vcc
	global_load_ushort v155, v[22:23], off
	global_load_dword v156, v[24:25], off offset:2
	v_cvt_f16_i16_sdwa v22, sext(v31) dst_sel:DWORD dst_unused:UNUSED_PAD src0_sel:BYTE_0
	v_cvt_f16_i16_sdwa v23, sext(v32) dst_sel:DWORD dst_unused:UNUSED_PAD src0_sel:BYTE_0
	v_pack_b32_f16 v22, v22, v23
	v_pk_mul_f16 v31, v22, v30
	v_add_co_u32_e32 v22, vcc, v33, v150
	v_addc_co_u32_e32 v23, vcc, v152, v149, vcc
	v_add_co_u32_e32 v24, vcc, v22, v76
	v_addc_co_u32_e32 v25, vcc, 0, v23, vcc
	global_load_ushort v33, v[22:23], off
	global_load_dword v152, v[24:25], off offset:2
	v_pk_lshrrev_b16 v32, 8, v154 op_sel:[1,1] op_sel_hi:[0,1]
	v_lshrrev_b32_e32 v22, 16, v32
	v_cvt_f16_i16_sdwa v23, sext(v32) dst_sel:DWORD dst_unused:UNUSED_PAD src0_sel:BYTE_0
	v_cvt_f16_i16_sdwa v22, sext(v22) dst_sel:DWORD dst_unused:UNUSED_PAD src0_sel:BYTE_0
	v_pack_b32_f16 v22, v23, v22
	v_pk_mul_f16 v22, v22, v30
	v_pk_fma_f16 v26, v31, v18, v26
	v_pk_fma_f16 v18, v22, v18, v27
	v_mul_u32_u24_sdwa v27, v19, s51 dst_sel:DWORD dst_unused:UNUSED_PAD src0_sel:WORD_0 src1_sel:DWORD
	v_mul_u32_u24_sdwa v19, v19, s51 dst_sel:DWORD dst_unused:UNUSED_PAD src0_sel:WORD_1 src1_sel:DWORD
	s_waitcnt vmcnt(7)
	v_mul_u32_u24_e32 v22, 0x10001, v158
	s_waitcnt vmcnt(6)
	v_pk_lshrrev_b16 v23, 8, v159 op_sel:[1,0] op_sel_hi:[0,0]
	v_lshrrev_b32_e32 v24, 16, v23
	v_cvt_f16_i16_sdwa v23, sext(v23) dst_sel:DWORD dst_unused:UNUSED_PAD src0_sel:BYTE_0
	v_cvt_f16_i16_sdwa v24, sext(v24) dst_sel:DWORD dst_unused:UNUSED_PAD src0_sel:BYTE_0
	v_pack_b32_f16 v23, v23, v24
	v_pk_lshrrev_b16 v24, 8, v159 op_sel:[1,1] op_sel_hi:[0,1]
	v_lshrrev_b32_e32 v25, 16, v24
	v_cvt_f16_i16_sdwa v24, sext(v24) dst_sel:DWORD dst_unused:UNUSED_PAD src0_sel:BYTE_0
	v_cvt_f16_i16_sdwa v25, sext(v25) dst_sel:DWORD dst_unused:UNUSED_PAD src0_sel:BYTE_0
	v_pack_b32_f16 v24, v24, v25
	v_pk_mul_f16 v23, v23, v22
	v_pk_mul_f16 v22, v24, v22
	v_pk_fma_f16 v29, v22, v27, v29
	s_waitcnt vmcnt(5)
	v_mul_u32_u24_e32 v30, 0x10001, v151
	v_add_co_u32_e32 v151, vcc, s29, v132
	v_addc_co_u32_e32 v154, vcc, v147, v133, vcc
	v_add_co_u32_e32 v22, vcc, v151, v148
	v_pk_fma_f16 v28, v23, v27, v28
	v_addc_co_u32_e32 v23, vcc, v154, v146, vcc
	v_add_co_u32_e32 v24, vcc, v22, v74
	v_addc_co_u32_e32 v25, vcc, 0, v23, vcc
	global_load_ushort v157, v[22:23], off
	global_load_dword v158, v[24:25], off offset:2
	s_waitcnt vmcnt(6)
	v_pk_lshrrev_b16 v31, 8, v153 op_sel:[1,0] op_sel_hi:[0,0]
	v_lshrrev_b32_e32 v32, 16, v31
	v_cvt_f16_i16_sdwa v22, sext(v31) dst_sel:DWORD dst_unused:UNUSED_PAD src0_sel:BYTE_0
	v_cvt_f16_i16_sdwa v23, sext(v32) dst_sel:DWORD dst_unused:UNUSED_PAD src0_sel:BYTE_0
	v_pack_b32_f16 v22, v22, v23
	v_pk_mul_f16 v31, v22, v30
	v_add_co_u32_e32 v22, vcc, v151, v150
	v_addc_co_u32_e32 v23, vcc, v154, v149, vcc
	v_add_co_u32_e32 v24, vcc, v22, v76
	v_pk_lshrrev_b16 v32, 8, v153 op_sel:[1,1] op_sel_hi:[0,1]
	v_addc_co_u32_e32 v25, vcc, 0, v23, vcc
	global_load_ushort v151, v[22:23], off
	global_load_dword v153, v[24:25], off offset:2
	v_lshrrev_b32_e32 v22, 16, v32
	v_cvt_f16_i16_sdwa v23, sext(v32) dst_sel:DWORD dst_unused:UNUSED_PAD src0_sel:BYTE_0
	v_cvt_f16_i16_sdwa v22, sext(v22) dst_sel:DWORD dst_unused:UNUSED_PAD src0_sel:BYTE_0
	v_pack_b32_f16 v22, v23, v22
	v_pk_mul_f16 v22, v22, v30
	v_pk_fma_f16 v23, v31, v27, v26
	v_pk_fma_f16 v18, v22, v27, v18
	v_mul_u32_u24_sdwa v32, v20, s51 dst_sel:DWORD dst_unused:UNUSED_PAD src0_sel:WORD_0 src1_sel:DWORD
	s_waitcnt vmcnt(7)
	v_mul_u32_u24_e32 v22, 0x10001, v155
	s_waitcnt vmcnt(6)
	v_pk_lshrrev_b16 v24, 8, v156 op_sel:[1,0] op_sel_hi:[0,0]
	v_lshrrev_b32_e32 v25, 16, v24
	v_cvt_f16_i16_sdwa v24, sext(v24) dst_sel:DWORD dst_unused:UNUSED_PAD src0_sel:BYTE_0
	v_cvt_f16_i16_sdwa v25, sext(v25) dst_sel:DWORD dst_unused:UNUSED_PAD src0_sel:BYTE_0
	v_pack_b32_f16 v24, v24, v25
	v_pk_lshrrev_b16 v25, 8, v156 op_sel:[1,1] op_sel_hi:[0,1]
	v_lshrrev_b32_e32 v26, 16, v25
	v_pk_mul_f16 v24, v24, v22
	v_cvt_f16_i16_sdwa v25, sext(v25) dst_sel:DWORD dst_unused:UNUSED_PAD src0_sel:BYTE_0
	v_cvt_f16_i16_sdwa v26, sext(v26) dst_sel:DWORD dst_unused:UNUSED_PAD src0_sel:BYTE_0
	v_pack_b32_f16 v25, v25, v26
	v_pk_fma_f16 v28, v24, v19, v28
	v_pk_mul_f16 v22, v25, v22
	s_waitcnt vmcnt(4)
	v_pk_lshrrev_b16 v24, 8, v152 op_sel:[1,0] op_sel_hi:[0,0]
	v_lshrrev_b32_e32 v25, 16, v24
	v_cvt_f16_i16_sdwa v24, sext(v24) dst_sel:DWORD dst_unused:UNUSED_PAD src0_sel:BYTE_0
	v_cvt_f16_i16_sdwa v25, sext(v25) dst_sel:DWORD dst_unused:UNUSED_PAD src0_sel:BYTE_0
	v_pack_b32_f16 v24, v24, v25
	v_pk_lshrrev_b16 v25, 8, v152 op_sel:[1,1] op_sel_hi:[0,1]
	v_pk_fma_f16 v29, v22, v19, v29
	v_mul_u32_u24_e32 v22, 0x10001, v33
	v_lshrrev_b32_e32 v26, 16, v25
	v_pk_mul_f16 v24, v24, v22
	v_cvt_f16_i16_sdwa v25, sext(v25) dst_sel:DWORD dst_unused:UNUSED_PAD src0_sel:BYTE_0
	v_cvt_f16_i16_sdwa v26, sext(v26) dst_sel:DWORD dst_unused:UNUSED_PAD src0_sel:BYTE_0
	v_pack_b32_f16 v25, v25, v26
	v_pk_fma_f16 v30, v24, v19, v23
	v_add_co_u32_e32 v24, vcc, s29, v134
	v_pk_mul_f16 v22, v25, v22
	v_addc_co_u32_e32 v25, vcc, v147, v135, vcc
	v_pk_fma_f16 v31, v22, v19, v18
	v_add_co_u32_e32 v18, vcc, v24, v148
	v_addc_co_u32_e32 v19, vcc, v25, v146, vcc
	v_add_co_u32_e32 v22, vcc, v18, v74
	v_addc_co_u32_e32 v23, vcc, 0, v19, vcc
	;; [unrolled: 2-line block ×4, first 2 shown]
	global_load_ushort v33, v[18:19], off
	global_load_dword v152, v[22:23], off offset:2
	s_nop 0
	global_load_ushort v24, v[24:25], off
	s_nop 0
	global_load_dword v25, v[26:27], off offset:2
	v_add_co_u32_e32 v154, vcc, s29, v136
	v_addc_co_u32_e32 v155, vcc, v147, v137, vcc
	s_waitcnt vmcnt(6)
	v_pk_lshrrev_b16 v19, 8, v158 op_sel:[1,0] op_sel_hi:[0,0]
	v_lshrrev_b32_e32 v22, 16, v19
	v_cvt_f16_i16_sdwa v19, sext(v19) dst_sel:DWORD dst_unused:UNUSED_PAD src0_sel:BYTE_0
	v_cvt_f16_i16_sdwa v22, sext(v22) dst_sel:DWORD dst_unused:UNUSED_PAD src0_sel:BYTE_0
	v_pack_b32_f16 v19, v19, v22
	v_pk_lshrrev_b16 v22, 8, v158 op_sel:[1,1] op_sel_hi:[0,1]
	v_lshrrev_b32_e32 v23, 16, v22
	v_cvt_f16_i16_sdwa v22, sext(v22) dst_sel:DWORD dst_unused:UNUSED_PAD src0_sel:BYTE_0
	v_cvt_f16_i16_sdwa v23, sext(v23) dst_sel:DWORD dst_unused:UNUSED_PAD src0_sel:BYTE_0
	v_mul_u32_u24_e32 v18, 0x10001, v157
	v_pack_b32_f16 v22, v22, v23
	v_pk_mul_f16 v19, v19, v18
	v_pk_mul_f16 v18, v22, v18
	v_pk_fma_f16 v27, v18, v32, v29
	v_add_co_u32_e32 v18, vcc, v154, v148
	v_pk_fma_f16 v26, v19, v32, v28
	v_addc_co_u32_e32 v19, vcc, v155, v146, vcc
	s_waitcnt vmcnt(4)
	v_pk_lshrrev_b16 v29, 8, v153 op_sel:[1,0] op_sel_hi:[0,0]
	v_add_co_u32_e32 v22, vcc, v18, v74
	v_mul_u32_u24_e32 v28, 0x10001, v151
	v_lshrrev_b32_e32 v151, 16, v29
	v_addc_co_u32_e32 v23, vcc, 0, v19, vcc
	global_load_ushort v156, v[18:19], off
	global_load_dword v157, v[22:23], off offset:2
	v_cvt_f16_i16_sdwa v18, sext(v29) dst_sel:DWORD dst_unused:UNUSED_PAD src0_sel:BYTE_0
	v_cvt_f16_i16_sdwa v19, sext(v151) dst_sel:DWORD dst_unused:UNUSED_PAD src0_sel:BYTE_0
	v_pack_b32_f16 v18, v18, v19
	v_pk_mul_f16 v29, v18, v28
	v_add_co_u32_e32 v18, vcc, v154, v150
	v_addc_co_u32_e32 v19, vcc, v155, v149, vcc
	v_add_co_u32_e32 v22, vcc, v18, v76
	v_pk_lshrrev_b16 v151, 8, v153 op_sel:[1,1] op_sel_hi:[0,1]
	v_addc_co_u32_e32 v23, vcc, 0, v19, vcc
	global_load_ushort v153, v[18:19], off
	global_load_dword v154, v[22:23], off offset:2
	v_add_co_u32_e32 v158, vcc, s29, v138
	v_addc_co_u32_e32 v147, vcc, v147, v139, vcc
	v_add_co_u32_e32 v18, vcc, v158, v148
	v_addc_co_u32_e32 v19, vcc, v147, v146, vcc
	;; [unrolled: 2-line block ×3, first 2 shown]
	global_load_ushort v146, v[18:19], off
	global_load_dword v148, v[22:23], off offset:2
	v_lshrrev_b32_e32 v155, 16, v151
	v_cvt_f16_i16_sdwa v151, sext(v151) dst_sel:DWORD dst_unused:UNUSED_PAD src0_sel:BYTE_0
	v_cvt_f16_i16_sdwa v18, sext(v155) dst_sel:DWORD dst_unused:UNUSED_PAD src0_sel:BYTE_0
	v_pack_b32_f16 v18, v151, v18
	v_pk_mul_f16 v18, v18, v28
	v_pk_fma_f16 v28, v29, v32, v30
	v_pk_fma_f16 v29, v18, v32, v31
	v_add_co_u32_e32 v18, vcc, v158, v150
	v_addc_co_u32_e32 v19, vcc, v147, v149, vcc
	v_add_co_u32_e32 v22, vcc, v18, v76
	v_addc_co_u32_e32 v23, vcc, 0, v19, vcc
	global_load_ushort v18, v[18:19], off
	s_nop 0
	global_load_dword v19, v[22:23], off offset:2
	v_mul_u32_u24_sdwa v20, v20, s51 dst_sel:DWORD dst_unused:UNUSED_PAD src0_sel:WORD_1 src1_sel:DWORD
	s_add_u32 s29, s29, s45
	s_waitcnt vmcnt(11)
	v_mul_u32_u24_e32 v22, 0x10001, v33
	s_waitcnt vmcnt(10)
	v_pk_lshrrev_b16 v23, 8, v152 op_sel:[1,0] op_sel_hi:[0,0]
	v_lshrrev_b32_e32 v30, 16, v23
	v_cvt_f16_i16_sdwa v23, sext(v23) dst_sel:DWORD dst_unused:UNUSED_PAD src0_sel:BYTE_0
	v_cvt_f16_i16_sdwa v30, sext(v30) dst_sel:DWORD dst_unused:UNUSED_PAD src0_sel:BYTE_0
	v_pack_b32_f16 v23, v23, v30
	v_pk_lshrrev_b16 v30, 8, v152 op_sel:[1,1] op_sel_hi:[0,1]
	v_lshrrev_b32_e32 v31, 16, v30
	v_cvt_f16_i16_sdwa v30, sext(v30) dst_sel:DWORD dst_unused:UNUSED_PAD src0_sel:BYTE_0
	v_cvt_f16_i16_sdwa v31, sext(v31) dst_sel:DWORD dst_unused:UNUSED_PAD src0_sel:BYTE_0
	v_pk_mul_f16 v23, v23, v22
	v_pack_b32_f16 v30, v30, v31
	v_pk_mul_f16 v22, v30, v22
	v_pk_fma_f16 v23, v23, v20, v26
	s_waitcnt vmcnt(8)
	v_pk_lshrrev_b16 v26, 8, v25 op_sel:[1,0] op_sel_hi:[0,0]
	v_pk_fma_f16 v22, v22, v20, v27
	v_lshrrev_b32_e32 v27, 16, v26
	v_cvt_f16_i16_sdwa v26, sext(v26) dst_sel:DWORD dst_unused:UNUSED_PAD src0_sel:BYTE_0
	v_cvt_f16_i16_sdwa v27, sext(v27) dst_sel:DWORD dst_unused:UNUSED_PAD src0_sel:BYTE_0
	v_pk_lshrrev_b16 v25, 8, v25 op_sel:[1,1] op_sel_hi:[0,1]
	v_pack_b32_f16 v26, v26, v27
	v_lshrrev_b32_e32 v27, 16, v25
	v_mul_u32_u24_e32 v24, 0x10001, v24
	v_cvt_f16_i16_sdwa v25, sext(v25) dst_sel:DWORD dst_unused:UNUSED_PAD src0_sel:BYTE_0
	v_cvt_f16_i16_sdwa v27, sext(v27) dst_sel:DWORD dst_unused:UNUSED_PAD src0_sel:BYTE_0
	v_pk_mul_f16 v26, v26, v24
	v_pack_b32_f16 v25, v25, v27
	v_pk_mul_f16 v24, v25, v24
	v_pk_fma_f16 v25, v26, v20, v28
	v_pk_fma_f16 v20, v24, v20, v29
	v_mul_u32_u24_sdwa v24, v21, s51 dst_sel:DWORD dst_unused:UNUSED_PAD src0_sel:WORD_0 src1_sel:DWORD
	s_addc_u32 s31, s31, 0
	s_lshl_b64 s[12:13], s[42:43], 1
	s_waitcnt vmcnt(7)
	v_mul_u32_u24_e32 v26, 0x10001, v156
	s_waitcnt vmcnt(6)
	v_pk_lshrrev_b16 v27, 8, v157 op_sel:[1,0] op_sel_hi:[0,0]
	v_lshrrev_b32_e32 v28, 16, v27
	v_cvt_f16_i16_sdwa v27, sext(v27) dst_sel:DWORD dst_unused:UNUSED_PAD src0_sel:BYTE_0
	v_cvt_f16_i16_sdwa v28, sext(v28) dst_sel:DWORD dst_unused:UNUSED_PAD src0_sel:BYTE_0
	v_pack_b32_f16 v27, v27, v28
	v_pk_lshrrev_b16 v28, 8, v157 op_sel:[1,1] op_sel_hi:[0,1]
	v_lshrrev_b32_e32 v29, 16, v28
	v_pk_mul_f16 v27, v27, v26
	v_cvt_f16_i16_sdwa v28, sext(v28) dst_sel:DWORD dst_unused:UNUSED_PAD src0_sel:BYTE_0
	v_cvt_f16_i16_sdwa v29, sext(v29) dst_sel:DWORD dst_unused:UNUSED_PAD src0_sel:BYTE_0
	v_pack_b32_f16 v28, v28, v29
	v_pk_fma_f16 v23, v27, v24, v23
	v_pk_mul_f16 v26, v28, v26
	v_pk_fma_f16 v26, v26, v24, v22
	s_waitcnt vmcnt(4)
	v_pk_lshrrev_b16 v27, 8, v154 op_sel:[1,0] op_sel_hi:[0,0]
	v_lshrrev_b32_e32 v28, 16, v27
	v_cvt_f16_i16_sdwa v27, sext(v27) dst_sel:DWORD dst_unused:UNUSED_PAD src0_sel:BYTE_0
	v_cvt_f16_i16_sdwa v28, sext(v28) dst_sel:DWORD dst_unused:UNUSED_PAD src0_sel:BYTE_0
	v_pack_b32_f16 v27, v27, v28
	v_pk_lshrrev_b16 v28, 8, v154 op_sel:[1,1] op_sel_hi:[0,1]
	v_lshrrev_b32_e32 v29, 16, v28
	v_cvt_f16_i16_sdwa v28, sext(v28) dst_sel:DWORD dst_unused:UNUSED_PAD src0_sel:BYTE_0
	v_cvt_f16_i16_sdwa v29, sext(v29) dst_sel:DWORD dst_unused:UNUSED_PAD src0_sel:BYTE_0
	v_mul_u32_u24_e32 v22, 0x10001, v153
	v_pack_b32_f16 v28, v28, v29
	v_pk_mul_f16 v27, v27, v22
	v_pk_mul_f16 v22, v28, v22
	v_pk_fma_f16 v20, v22, v24, v20
	s_waitcnt vmcnt(2)
	v_pk_lshrrev_b16 v22, 8, v148 op_sel:[1,0] op_sel_hi:[0,0]
	v_pk_fma_f16 v25, v27, v24, v25
	v_lshrrev_b32_e32 v27, 16, v22
	v_cvt_f16_i16_sdwa v22, sext(v22) dst_sel:DWORD dst_unused:UNUSED_PAD src0_sel:BYTE_0
	v_cvt_f16_i16_sdwa v27, sext(v27) dst_sel:DWORD dst_unused:UNUSED_PAD src0_sel:BYTE_0
	v_pack_b32_f16 v22, v22, v27
	v_pk_lshrrev_b16 v27, 8, v148 op_sel:[1,1] op_sel_hi:[0,1]
	v_lshrrev_b32_e32 v28, 16, v27
	v_cvt_f16_i16_sdwa v27, sext(v27) dst_sel:DWORD dst_unused:UNUSED_PAD src0_sel:BYTE_0
	v_cvt_f16_i16_sdwa v28, sext(v28) dst_sel:DWORD dst_unused:UNUSED_PAD src0_sel:BYTE_0
	v_mul_u32_u24_sdwa v24, v21, s51 dst_sel:DWORD dst_unused:UNUSED_PAD src0_sel:WORD_1 src1_sel:DWORD
	v_mul_u32_u24_e32 v21, 0x10001, v146
	v_pack_b32_f16 v27, v27, v28
	v_pk_mul_f16 v22, v22, v21
	v_pk_mul_f16 v21, v27, v21
	v_pk_fma_f16 v22, v22, v24, v23
	v_pk_fma_f16 v23, v21, v24, v26
	s_waitcnt vmcnt(0)
	v_pk_lshrrev_b16 v21, 8, v19 op_sel:[1,0] op_sel_hi:[0,0]
	v_lshrrev_b32_e32 v26, 16, v21
	v_cvt_f16_i16_sdwa v21, sext(v21) dst_sel:DWORD dst_unused:UNUSED_PAD src0_sel:BYTE_0
	v_cvt_f16_i16_sdwa v26, sext(v26) dst_sel:DWORD dst_unused:UNUSED_PAD src0_sel:BYTE_0
	v_pk_lshrrev_b16 v19, 8, v19 op_sel:[1,1] op_sel_hi:[0,1]
	v_pack_b32_f16 v21, v21, v26
	v_lshrrev_b32_e32 v26, 16, v19
	v_cvt_f16_i16_sdwa v19, sext(v19) dst_sel:DWORD dst_unused:UNUSED_PAD src0_sel:BYTE_0
	v_cvt_f16_i16_sdwa v26, sext(v26) dst_sel:DWORD dst_unused:UNUSED_PAD src0_sel:BYTE_0
	v_mul_u32_u24_e32 v18, 0x10001, v18
	v_pack_b32_f16 v19, v19, v26
	s_add_u32 s23, s23, s12
	v_pk_mul_f16 v21, v21, v18
	v_pk_mul_f16 v18, v19, v18
	s_addc_u32 s28, s28, s13
	v_pk_fma_f16 v21, v21, v24, v25
	s_cmp_ge_i32 s22, s38
	v_pk_fma_f16 v20, v18, v24, v20
	s_cbranch_scc1 .LBB27_42
; %bb.40:                               ;   in Loop: Header=BB27_15 Depth=1
	v_mov_b32_e32 v24, v145
	s_branch .LBB27_15
.LBB27_41:
	v_mov_b32_e32 v22, 0
	v_mov_b32_e32 v145, 0xfeffffff
	;; [unrolled: 1-line block ×5, first 2 shown]
.LBB27_42:
	s_cmp_lg_u64 s[20:21], 0
	v_or_b32_e32 v2, s7, v1
	s_cselect_b64 s[2:3], -1, 0
	v_cmp_eq_u32_e32 vcc, 0, v2
	s_and_b64 s[8:9], vcc, s[2:3]
	s_and_saveexec_b64 s[2:3], s[8:9]
	s_cbranch_execz .LBB27_44
; %bb.43:
	s_lshl_b64 s[8:9], s[36:37], 2
	s_add_u32 s8, s20, s8
	s_addc_u32 s9, s21, s9
	s_load_dword s8, s[8:9], 0x0
	v_max_f32_e32 v2, v145, v145
	s_mov_b32 s9, 0x3fb8aa3b
	s_mov_b32 s10, 0x42b17218
	s_waitcnt lgkmcnt(0)
	v_max_f32_e64 v3, s8, s8
	v_max_f32_e32 v2, v2, v3
	v_sub_f32_e32 v3, s8, v2
	v_mul_f32_e32 v4, 0x3fb8aa3b, v3
	v_fma_f32 v5, v3, s9, -v4
	v_rndne_f32_e32 v6, v4
	v_fmac_f32_e32 v5, 0x32a5705f, v3
	v_sub_f32_e32 v4, v4, v6
	v_add_f32_e32 v4, v4, v5
	v_cvt_i32_f32_e32 v5, v6
	v_exp_f32_e32 v4, v4
	s_mov_b32 s8, 0xc2ce8ed0
	v_cmp_ngt_f32_e32 vcc, s8, v3
	v_ldexp_f32 v4, v4, v5
	v_sub_f32_e32 v5, v145, v2
	v_mul_f32_e32 v6, 0x3fb8aa3b, v5
	v_fma_f32 v7, v5, s9, -v6
	v_rndne_f32_e32 v8, v6
	v_fmac_f32_e32 v7, 0x32a5705f, v5
	v_sub_f32_e32 v6, v6, v8
	v_add_f32_e32 v6, v6, v7
	v_exp_f32_e32 v6, v6
	v_cvt_i32_f32_e32 v7, v8
	v_cndmask_b32_e32 v4, 0, v4, vcc
	v_mov_b32_e32 v8, 0x7f800000
	v_cmp_nlt_f32_e32 vcc, s10, v3
	v_cndmask_b32_e32 v3, v8, v4, vcc
	v_ldexp_f32 v4, v6, v7
	v_cmp_ngt_f32_e32 vcc, s8, v5
	v_cndmask_b32_e32 v4, 0, v4, vcc
	v_cmp_nlt_f32_e32 vcc, s10, v5
	v_cndmask_b32_e32 v4, v8, v4, vcc
	v_cvt_f16_f32_e32 v5, v4
	v_cmp_eq_u32_e32 vcc, 0, v0
	v_cndmask_b32_e32 v3, 0, v3, vcc
	v_fmac_f32_e32 v3, v55, v4
	v_mul_u32_u24_e32 v4, 0x10001, v5
	v_pk_mul_f16 v22, v22, v4
	v_pk_mul_f16 v23, v23, v4
	;; [unrolled: 1-line block ×4, first 2 shown]
	v_mov_b32_e32 v55, v3
	v_mov_b32_e32 v145, v2
.LBB27_44:
	s_or_b64 exec, exec, s[2:3]
	s_and_saveexec_b64 s[2:3], s[0:1]
; %bb.45:
	v_mov_b32_e32 v2, 0xfeffffff
	v_mov_b32_e32 v3, 0
	v_add_u32_e32 v4, 0x800, v54
	ds_write2_b32 v4, v2, v3 offset1:32
; %bb.46:
	s_or_b64 exec, exec, s[2:3]
	v_cmp_eq_u32_e32 vcc, 0, v0
	v_lshlrev_b32_e32 v8, 2, v1
	s_waitcnt lgkmcnt(0)
	s_barrier
	s_and_saveexec_b64 s[0:1], vcc
; %bb.47:
	ds_write_b32 v8, v145 offset:2048
; %bb.48:
	s_or_b64 exec, exec, s[0:1]
	v_mbcnt_hi_u32_b32 v2, -1, v50
	s_waitcnt lgkmcnt(0)
	s_barrier
	v_and_b32_e32 v3, 0x60, v2
	ds_read_b32 v5, v54 offset:2048
	v_add_u32_e32 v7, 32, v3
	v_xor_b32_e32 v3, 16, v2
	v_cmp_lt_i32_e64 s[0:1], v3, v7
	v_cndmask_b32_e64 v3, v2, v3, s[0:1]
	v_lshlrev_b32_e32 v3, 2, v3
	s_waitcnt lgkmcnt(0)
	ds_bpermute_b32 v6, v3, v5
	v_xor_b32_e32 v4, 8, v2
	v_cmp_lt_i32_e64 s[0:1], v4, v7
	v_cndmask_b32_e64 v4, v2, v4, s[0:1]
	v_max_f32_e32 v5, v5, v5
	s_waitcnt lgkmcnt(0)
	v_max_f32_e32 v6, v6, v6
	v_lshlrev_b32_e32 v4, 2, v4
	v_max_f32_e32 v6, v5, v6
	ds_bpermute_b32 v9, v4, v6
	v_xor_b32_e32 v5, 4, v2
	v_cmp_lt_i32_e64 s[0:1], v5, v7
	v_cndmask_b32_e64 v5, v2, v5, s[0:1]
	v_lshlrev_b32_e32 v5, 2, v5
	s_waitcnt lgkmcnt(0)
	v_max_f32_e32 v9, v9, v9
	v_max_f32_e32 v9, v6, v9
	ds_bpermute_b32 v10, v5, v9
	v_xor_b32_e32 v6, 2, v2
	v_cmp_lt_i32_e64 s[0:1], v6, v7
	v_cndmask_b32_e64 v6, v2, v6, s[0:1]
	v_lshlrev_b32_e32 v6, 2, v6
	s_waitcnt lgkmcnt(0)
	v_max_f32_e32 v10, v10, v10
	;; [unrolled: 8-line block ×3, first 2 shown]
	v_max_f32_e32 v2, v9, v2
	ds_bpermute_b32 v9, v7, v2
	s_mov_b32 s0, 0x3fb8aa3b
	v_lshlrev_b32_e32 v14, 3, v0
	s_load_dword s3, s[4:5], 0xd4
	v_lshl_add_u32 v1, v1, 9, v14
	s_waitcnt lgkmcnt(0)
	v_max_f32_e32 v9, v9, v9
	v_max_f32_e32 v2, v2, v9
	v_sub_f32_e32 v9, v145, v2
	v_mul_f32_e32 v10, 0x3fb8aa3b, v9
	v_fma_f32 v11, v9, s0, -v10
	v_rndne_f32_e32 v12, v10
	v_fmac_f32_e32 v11, 0x32a5705f, v9
	v_sub_f32_e32 v10, v10, v12
	v_add_f32_e32 v10, v10, v11
	v_exp_f32_e32 v10, v10
	v_cvt_i32_f32_e32 v11, v12
	s_mov_b32 s0, 0xc2ce8ed0
	v_cmp_ngt_f32_e64 s[0:1], s0, v9
	v_ldexp_f32 v10, v10, v11
	v_cndmask_b32_e64 v10, 0, v10, s[0:1]
	s_mov_b32 s0, 0x42b17218
	v_mov_b32_e32 v11, 0x7f800000
	v_cmp_nlt_f32_e64 s[0:1], s0, v9
	v_cndmask_b32_e64 v9, v11, v10, s[0:1]
	v_mul_f32_e32 v10, v55, v9
	ds_bpermute_b32 v10, v3, v10
	v_cvt_f16_f32_e32 v0, v9
	s_waitcnt lgkmcnt(0)
	v_fmac_f32_e32 v10, v55, v9
	ds_bpermute_b32 v11, v4, v10
	v_mul_u32_u24_e32 v13, 0x10001, v0
	s_waitcnt lgkmcnt(0)
	v_add_f32_e32 v10, v10, v11
	ds_bpermute_b32 v11, v5, v10
	s_waitcnt lgkmcnt(0)
	v_add_f32_e32 v9, v10, v11
	ds_bpermute_b32 v12, v6, v9
	v_pk_mul_f16 v10, v22, v13
	v_pk_mul_f16 v11, v23, v13
	s_waitcnt lgkmcnt(0)
	v_add_f32_e32 v0, v9, v12
	ds_bpermute_b32 v9, v7, v0
	v_pk_mul_f16 v12, v21, v13
	v_pk_mul_f16 v13, v20, v13
	ds_write2_b64 v1, v[10:11], v[12:13] offset1:32
	s_and_saveexec_b64 s[0:1], vcc
	s_cbranch_execz .LBB27_50
; %bb.49:
	s_waitcnt lgkmcnt(1)
	v_add_f32_e32 v0, v0, v9
	ds_write_b32 v8, v0 offset:2176
.LBB27_50:
	s_or_b64 exec, exec, s[0:1]
	s_waitcnt lgkmcnt(0)
	s_barrier
	ds_read_b32 v0, v54 offset:2176
	ds_read_u16 v1, v53
	ds_read_u16 v8, v53 offset:1280
	ds_read_u16 v9, v53 offset:768
	;; [unrolled: 1-line block ×3, first 2 shown]
	s_waitcnt lgkmcnt(4)
	ds_bpermute_b32 v3, v3, v0
	s_waitcnt lgkmcnt(4)
	v_cvt_f32_f16_e32 v1, v1
	s_waitcnt lgkmcnt(3)
	v_cvt_f32_f16_e32 v8, v8
	;; [unrolled: 2-line block ×3, first 2 shown]
	s_mul_i32 s2, s33, s34
	s_waitcnt lgkmcnt(0)
	v_add_f32_e32 v0, v0, v3
	ds_bpermute_b32 v3, v4, v0
	ds_read_u16 v4, v53 offset:512
	ds_read_u16 v11, v53 offset:1024
	;; [unrolled: 1-line block ×4, first 2 shown]
	v_add_f32_e32 v1, 0, v1
	s_waitcnt lgkmcnt(3)
	v_cvt_f32_f16_e32 v4, v4
	s_add_i32 s2, s2, s6
	v_add_f32_e32 v0, v0, v3
	ds_bpermute_b32 v3, v5, v0
	s_waitcnt lgkmcnt(3)
	v_cvt_f32_f16_e32 v5, v11
	s_waitcnt lgkmcnt(2)
	v_cvt_f32_f16_e32 v11, v12
	v_add_f32_e32 v1, v1, v4
	s_waitcnt lgkmcnt(0)
	v_add_f32_e32 v0, v0, v3
	ds_bpermute_b32 v3, v6, v0
	v_cvt_f32_f16_e32 v6, v10
	v_add_f32_e32 v1, v1, v5
	v_cvt_f32_f16_e32 v10, v13
	s_waitcnt lgkmcnt(0)
	v_add_f32_e32 v0, v0, v3
	ds_bpermute_b32 v3, v7, v0
	v_add_f32_e32 v7, v1, v11
	v_add_f32_e32 v1, 0, v6
	;; [unrolled: 1-line block ×4, first 2 shown]
	s_waitcnt lgkmcnt(0)
	v_add_f32_e32 v3, v0, v3
	v_div_scale_f32 v0, s[0:1], v3, v3, v7
	v_add_f32_e32 v6, v1, v10
	v_div_scale_f32 v4, s[0:1], v3, v3, v6
	v_div_scale_f32 v5, vcc, v7, v3, v7
	v_div_scale_f32 v8, s[0:1], v6, v3, v6
	v_mov_b32_e32 v1, 0
	v_mov_b32_e32 v10, s25
	v_rcp_f32_e32 v9, v0
	v_rcp_f32_e32 v11, v4
	v_fma_f32 v12, -v0, v9, 1.0
	v_fmac_f32_e32 v9, v12, v9
	v_mul_f32_e32 v12, v5, v9
	v_fma_f32 v13, -v0, v12, v5
	v_fmac_f32_e32 v12, v13, v9
	v_fma_f32 v0, -v0, v12, v5
	v_div_fmas_f32 v9, v0, v9, v12
	v_fma_f32 v0, -v4, v11, 1.0
	v_fmac_f32_e32 v11, v0, v11
	v_mul_f32_e32 v0, v8, v11
	v_fma_f32 v5, -v4, v0, v8
	v_fmac_f32_e32 v0, v5, v11
	v_fma_f32 v4, -v4, v0, v8
	s_mov_b64 vcc, s[0:1]
	v_div_fmas_f32 v8, v4, v11, v0
	s_mul_i32 s0, s2, s35
	s_add_i32 s0, s0, s36
	s_mul_i32 s0, s3, s0
	s_add_i32 s2, s0, s7
	v_lshl_or_b32 v0, s2, 8, v52
	v_lshlrev_b64 v[4:5], 2, v[0:1]
	s_cmp_eq_u32 s3, 1
	v_div_fixup_f32 v0, v9, v3, v7
	s_cselect_b64 vcc, -1, 0
	v_add_co_u32_e64 v4, s[0:1], s24, v4
	v_cndmask_b32_e32 v0, v7, v0, vcc
	v_addc_co_u32_e64 v5, s[0:1], v10, v5, s[0:1]
	global_store_dword v[4:5], v0, off
	v_div_fixup_f32 v0, v8, v3, v6
	s_cmp_lg_u32 s3, 1
	v_cndmask_b32_e32 v0, v6, v0, vcc
	s_cselect_b64 s[0:1], -1, 0
	v_cmp_eq_u32_e32 vcc, 0, v52
	s_and_b64 s[0:1], vcc, s[0:1]
	global_store_dword v[4:5], v0, off offset:512
	s_and_saveexec_b64 s[4:5], s[0:1]
	s_cbranch_execz .LBB27_52
; %bb.51:
	s_mov_b32 s3, 0
	s_lshl_b64 s[0:1], s[2:3], 3
	s_add_u32 s0, s26, s0
	s_addc_u32 s1, s27, s1
	global_store_dwordx2 v1, v[2:3], s[0:1]
.LBB27_52:
	s_endpgm
	.section	.rodata,"a",@progbits
	.p2align	6, 0x0
	.amdhsa_kernel _ZL18flash_attn_ext_vecILi256ELi1EL9ggml_type2ELS0_8ELb1EEvPKcS2_S2_S2_S2_PKiPfP15HIP_vector_typeIfLj2EEffffjfiS6_IjLj3EEiiiiiiiiiiiliiliiiiil
		.amdhsa_group_segment_fixed_size 2304
		.amdhsa_private_segment_fixed_size 0
		.amdhsa_kernarg_size 464
		.amdhsa_user_sgpr_count 6
		.amdhsa_user_sgpr_private_segment_buffer 1
		.amdhsa_user_sgpr_dispatch_ptr 0
		.amdhsa_user_sgpr_queue_ptr 0
		.amdhsa_user_sgpr_kernarg_segment_ptr 1
		.amdhsa_user_sgpr_dispatch_id 0
		.amdhsa_user_sgpr_flat_scratch_init 0
		.amdhsa_user_sgpr_private_segment_size 0
		.amdhsa_uses_dynamic_stack 0
		.amdhsa_system_sgpr_private_segment_wavefront_offset 0
		.amdhsa_system_sgpr_workgroup_id_x 1
		.amdhsa_system_sgpr_workgroup_id_y 1
		.amdhsa_system_sgpr_workgroup_id_z 1
		.amdhsa_system_sgpr_workgroup_info 0
		.amdhsa_system_vgpr_workitem_id 1
		.amdhsa_next_free_vgpr 172
		.amdhsa_next_free_sgpr 61
		.amdhsa_reserve_vcc 1
		.amdhsa_reserve_flat_scratch 0
		.amdhsa_float_round_mode_32 0
		.amdhsa_float_round_mode_16_64 0
		.amdhsa_float_denorm_mode_32 3
		.amdhsa_float_denorm_mode_16_64 3
		.amdhsa_dx10_clamp 1
		.amdhsa_ieee_mode 1
		.amdhsa_fp16_overflow 0
		.amdhsa_exception_fp_ieee_invalid_op 0
		.amdhsa_exception_fp_denorm_src 0
		.amdhsa_exception_fp_ieee_div_zero 0
		.amdhsa_exception_fp_ieee_overflow 0
		.amdhsa_exception_fp_ieee_underflow 0
		.amdhsa_exception_fp_ieee_inexact 0
		.amdhsa_exception_int_div_zero 0
	.end_amdhsa_kernel
	.section	.text._ZL18flash_attn_ext_vecILi256ELi1EL9ggml_type2ELS0_8ELb1EEvPKcS2_S2_S2_S2_PKiPfP15HIP_vector_typeIfLj2EEffffjfiS6_IjLj3EEiiiiiiiiiiiliiliiiiil,"axG",@progbits,_ZL18flash_attn_ext_vecILi256ELi1EL9ggml_type2ELS0_8ELb1EEvPKcS2_S2_S2_S2_PKiPfP15HIP_vector_typeIfLj2EEffffjfiS6_IjLj3EEiiiiiiiiiiiliiliiiiil,comdat
.Lfunc_end27:
	.size	_ZL18flash_attn_ext_vecILi256ELi1EL9ggml_type2ELS0_8ELb1EEvPKcS2_S2_S2_S2_PKiPfP15HIP_vector_typeIfLj2EEffffjfiS6_IjLj3EEiiiiiiiiiiiliiliiiiil, .Lfunc_end27-_ZL18flash_attn_ext_vecILi256ELi1EL9ggml_type2ELS0_8ELb1EEvPKcS2_S2_S2_S2_PKiPfP15HIP_vector_typeIfLj2EEffffjfiS6_IjLj3EEiiiiiiiiiiiliiliiiiil
                                        ; -- End function
	.set _ZL18flash_attn_ext_vecILi256ELi1EL9ggml_type2ELS0_8ELb1EEvPKcS2_S2_S2_S2_PKiPfP15HIP_vector_typeIfLj2EEffffjfiS6_IjLj3EEiiiiiiiiiiiliiliiiiil.num_vgpr, 172
	.set _ZL18flash_attn_ext_vecILi256ELi1EL9ggml_type2ELS0_8ELb1EEvPKcS2_S2_S2_S2_PKiPfP15HIP_vector_typeIfLj2EEffffjfiS6_IjLj3EEiiiiiiiiiiiliiliiiiil.num_agpr, 0
	.set _ZL18flash_attn_ext_vecILi256ELi1EL9ggml_type2ELS0_8ELb1EEvPKcS2_S2_S2_S2_PKiPfP15HIP_vector_typeIfLj2EEffffjfiS6_IjLj3EEiiiiiiiiiiiliiliiiiil.numbered_sgpr, 54
	.set _ZL18flash_attn_ext_vecILi256ELi1EL9ggml_type2ELS0_8ELb1EEvPKcS2_S2_S2_S2_PKiPfP15HIP_vector_typeIfLj2EEffffjfiS6_IjLj3EEiiiiiiiiiiiliiliiiiil.num_named_barrier, 0
	.set _ZL18flash_attn_ext_vecILi256ELi1EL9ggml_type2ELS0_8ELb1EEvPKcS2_S2_S2_S2_PKiPfP15HIP_vector_typeIfLj2EEffffjfiS6_IjLj3EEiiiiiiiiiiiliiliiiiil.private_seg_size, 0
	.set _ZL18flash_attn_ext_vecILi256ELi1EL9ggml_type2ELS0_8ELb1EEvPKcS2_S2_S2_S2_PKiPfP15HIP_vector_typeIfLj2EEffffjfiS6_IjLj3EEiiiiiiiiiiiliiliiiiil.uses_vcc, 1
	.set _ZL18flash_attn_ext_vecILi256ELi1EL9ggml_type2ELS0_8ELb1EEvPKcS2_S2_S2_S2_PKiPfP15HIP_vector_typeIfLj2EEffffjfiS6_IjLj3EEiiiiiiiiiiiliiliiiiil.uses_flat_scratch, 0
	.set _ZL18flash_attn_ext_vecILi256ELi1EL9ggml_type2ELS0_8ELb1EEvPKcS2_S2_S2_S2_PKiPfP15HIP_vector_typeIfLj2EEffffjfiS6_IjLj3EEiiiiiiiiiiiliiliiiiil.has_dyn_sized_stack, 0
	.set _ZL18flash_attn_ext_vecILi256ELi1EL9ggml_type2ELS0_8ELb1EEvPKcS2_S2_S2_S2_PKiPfP15HIP_vector_typeIfLj2EEffffjfiS6_IjLj3EEiiiiiiiiiiiliiliiiiil.has_recursion, 0
	.set _ZL18flash_attn_ext_vecILi256ELi1EL9ggml_type2ELS0_8ELb1EEvPKcS2_S2_S2_S2_PKiPfP15HIP_vector_typeIfLj2EEffffjfiS6_IjLj3EEiiiiiiiiiiiliiliiiiil.has_indirect_call, 0
	.section	.AMDGPU.csdata,"",@progbits
; Kernel info:
; codeLenInByte = 20736
; TotalNumSgprs: 58
; NumVgprs: 172
; ScratchSize: 0
; MemoryBound: 0
; FloatMode: 240
; IeeeMode: 1
; LDSByteSize: 2304 bytes/workgroup (compile time only)
; SGPRBlocks: 8
; VGPRBlocks: 42
; NumSGPRsForWavesPerEU: 65
; NumVGPRsForWavesPerEU: 172
; Occupancy: 1
; WaveLimiterHint : 0
; COMPUTE_PGM_RSRC2:SCRATCH_EN: 0
; COMPUTE_PGM_RSRC2:USER_SGPR: 6
; COMPUTE_PGM_RSRC2:TRAP_HANDLER: 0
; COMPUTE_PGM_RSRC2:TGID_X_EN: 1
; COMPUTE_PGM_RSRC2:TGID_Y_EN: 1
; COMPUTE_PGM_RSRC2:TGID_Z_EN: 1
; COMPUTE_PGM_RSRC2:TIDIG_COMP_CNT: 1
	.section	.text._ZL18flash_attn_ext_vecILi256ELi2EL9ggml_type2ELS0_8ELb0EEvPKcS2_S2_S2_S2_PKiPfP15HIP_vector_typeIfLj2EEffffjfiS6_IjLj3EEiiiiiiiiiiiliiliiiiil,"axG",@progbits,_ZL18flash_attn_ext_vecILi256ELi2EL9ggml_type2ELS0_8ELb0EEvPKcS2_S2_S2_S2_PKiPfP15HIP_vector_typeIfLj2EEffffjfiS6_IjLj3EEiiiiiiiiiiiliiliiiiil,comdat
	.globl	_ZL18flash_attn_ext_vecILi256ELi2EL9ggml_type2ELS0_8ELb0EEvPKcS2_S2_S2_S2_PKiPfP15HIP_vector_typeIfLj2EEffffjfiS6_IjLj3EEiiiiiiiiiiiliiliiiiil ; -- Begin function _ZL18flash_attn_ext_vecILi256ELi2EL9ggml_type2ELS0_8ELb0EEvPKcS2_S2_S2_S2_PKiPfP15HIP_vector_typeIfLj2EEffffjfiS6_IjLj3EEiiiiiiiiiiiliiliiiiil
	.p2align	8
	.type	_ZL18flash_attn_ext_vecILi256ELi2EL9ggml_type2ELS0_8ELb0EEvPKcS2_S2_S2_S2_PKiPfP15HIP_vector_typeIfLj2EEffffjfiS6_IjLj3EEiiiiiiiiiiiliiliiiiil,@function
_ZL18flash_attn_ext_vecILi256ELi2EL9ggml_type2ELS0_8ELb0EEvPKcS2_S2_S2_S2_PKiPfP15HIP_vector_typeIfLj2EEffffjfiS6_IjLj3EEiiiiiiiiiiiliiliiiiil: ; @_ZL18flash_attn_ext_vecILi256ELi2EL9ggml_type2ELS0_8ELb0EEvPKcS2_S2_S2_S2_PKiPfP15HIP_vector_typeIfLj2EEffffjfiS6_IjLj3EEiiiiiiiiiiiliiliiiiil
; %bb.0:
	s_load_dwordx2 s[22:23], s[4:5], 0x64
	s_load_dwordx2 s[52:53], s[4:5], 0x80
	;; [unrolled: 1-line block ×3, first 2 shown]
	s_add_u32 s0, s0, s9
	s_addc_u32 s1, s1, 0
	s_waitcnt lgkmcnt(0)
	v_cvt_f32_u32_e32 v2, s23
	s_sub_i32 s9, 0, s23
	v_mov_b32_e32 v92, 1.0
	v_rcp_iflag_f32_e32 v2, v2
	v_mul_f32_e32 v2, 0x4f7ffffe, v2
	v_cvt_u32_f32_e32 v2, v2
	v_readfirstlane_b32 s10, v2
	s_mul_i32 s9, s9, s10
	s_mul_hi_u32 s9, s10, s9
	s_add_i32 s10, s10, s9
	s_mul_hi_u32 s9, s8, s10
	s_mul_i32 s10, s9, s23
	s_sub_i32 s10, s8, s10
	s_add_i32 s11, s9, 1
	s_sub_i32 s12, s10, s23
	s_cmp_ge_u32 s10, s23
	s_cselect_b32 s9, s11, s9
	s_cselect_b32 s10, s12, s10
	s_add_i32 s11, s9, 1
	s_cmp_ge_u32 s10, s23
	s_cselect_b32 s54, s11, s9
	s_abs_i32 s9, s53
	v_cvt_f32_u32_e32 v2, s9
	s_mul_i32 s12, s54, s23
	s_sub_i32 s13, 0, s9
	s_sub_i32 s24, s8, s12
	v_rcp_iflag_f32_e32 v2, v2
	s_abs_i32 s11, s23
	s_xor_b32 s10, s23, s53
	s_ashr_i32 s10, s10, 31
	v_mul_f32_e32 v2, 0x4f7ffffe, v2
	v_cvt_u32_f32_e32 v2, v2
	v_readfirstlane_b32 s8, v2
	s_mul_i32 s13, s13, s8
	s_mul_hi_u32 s12, s8, s13
	s_add_i32 s8, s8, s12
	s_mul_hi_u32 s8, s11, s8
	s_mul_i32 s12, s8, s9
	s_sub_i32 s11, s11, s12
	s_add_i32 s13, s8, 1
	s_sub_i32 s12, s11, s9
	s_cmp_ge_u32 s11, s9
	s_cselect_b32 s8, s13, s8
	s_cselect_b32 s11, s12, s11
	s_add_i32 s12, s8, 1
	s_cmp_ge_u32 s11, s9
	s_cselect_b32 s8, s12, s8
	s_xor_b32 s8, s8, s10
	s_sub_i32 s31, s8, s10
	s_abs_i32 s28, s26
	s_abs_i32 s30, s31
	v_cvt_f32_u32_e32 v2, s28
	v_cvt_f32_u32_e32 v3, s30
	s_load_dwordx4 s[16:19], s[4:5], 0x40
	s_load_dword s8, s[4:5], 0x50
	v_rcp_iflag_f32_e32 v2, v2
	v_rcp_iflag_f32_e32 v3, v3
	s_waitcnt lgkmcnt(0)
	v_cmp_le_f32_e64 s[10:11], s17, 0
	s_and_b64 vcc, exec, s[10:11]
	v_mul_f32_e32 v2, 0x4f7ffffe, v2
	v_mul_f32_e32 v3, 0x4f7ffffe, v3
	v_cvt_u32_f32_e32 v2, v2
	v_cvt_u32_f32_e32 v3, v3
	v_readfirstlane_b32 s34, v2
	v_readfirstlane_b32 s35, v3
	s_cbranch_vccnz .LBB28_2
; %bb.1:
	v_mov_b32_e32 v2, s8
	v_sub_co_u32_e32 v2, vcc, s24, v2
	v_mov_b32_e32 v3, s19
	v_mov_b32_e32 v4, s18
	s_add_i32 s8, s24, 1
	v_lshlrev_b32_e32 v2, 1, v2
	v_cndmask_b32_e32 v3, v3, v4, vcc
	v_or_b32_e32 v2, 1, v2
	v_mov_b32_e32 v4, s8
	v_cndmask_b32_e32 v2, v2, v4, vcc
	v_cvt_f32_i32_e32 v2, v2
	v_cmp_neq_f32_e32 vcc, 1.0, v3
	s_mov_b32 s8, 0x3f2aaaab
	s_movk_i32 s10, 0x204
	v_cndmask_b32_e32 v4, 1.0, v2, vcc
	v_cmp_neq_f32_e32 vcc, 0, v4
	v_cndmask_b32_e32 v5, 1.0, v3, vcc
	v_frexp_mant_f32_e64 v2, |v5|
	v_cmp_gt_f32_e32 vcc, s8, v2
	v_cndmask_b32_e64 v3, 1.0, 2.0, vcc
	v_mul_f32_e32 v2, v2, v3
	v_add_f32_e32 v3, 1.0, v2
	v_rcp_f32_e32 v6, v3
	v_add_f32_e32 v7, -1.0, v2
	v_add_f32_e32 v8, -1.0, v3
	v_sub_f32_e32 v2, v2, v8
	v_mul_f32_e32 v8, v7, v6
	v_mul_f32_e32 v9, v3, v8
	v_fma_f32 v3, v8, v3, -v9
	v_fmac_f32_e32 v3, v8, v2
	v_add_f32_e32 v2, v9, v3
	v_sub_f32_e32 v10, v7, v2
	v_sub_f32_e32 v9, v2, v9
	;; [unrolled: 1-line block ×5, first 2 shown]
	v_add_f32_e32 v2, v3, v2
	v_add_f32_e32 v2, v10, v2
	v_mul_f32_e32 v2, v6, v2
	v_add_f32_e32 v6, v8, v2
	v_sub_f32_e32 v3, v6, v8
	v_sub_f32_e32 v7, v2, v3
	v_mul_f32_e32 v2, v6, v6
	v_fma_f32 v3, v6, v6, -v2
	v_add_f32_e32 v8, v7, v7
	v_fmac_f32_e32 v3, v6, v8
	v_add_f32_e32 v8, v2, v3
	v_mov_b32_e32 v9, 0x3e91f4c4
	v_sub_f32_e32 v2, v8, v2
	v_fmac_f32_e32 v9, 0x3e76c4e1, v8
	v_mov_b32_e32 v10, 0x3ecccdef
	v_sub_f32_e32 v2, v3, v2
	v_mul_f32_e32 v3, v6, v8
	v_fmac_f32_e32 v10, v8, v9
	v_fma_f32 v9, v8, v6, -v3
	v_fmac_f32_e32 v9, v8, v7
	v_fmac_f32_e32 v9, v2, v6
	v_add_f32_e32 v11, v3, v9
	v_sub_f32_e32 v3, v11, v3
	v_sub_f32_e32 v9, v9, v3
	v_mul_f32_e32 v3, v8, v10
	v_fma_f32 v8, v8, v10, -v3
	v_fmac_f32_e32 v8, v2, v10
	v_add_f32_e32 v10, v3, v8
	v_sub_f32_e32 v2, v10, v3
	v_sub_f32_e32 v8, v8, v2
	v_cvt_f64_f32_e64 v[2:3], |v5|
	v_add_f32_e32 v12, 0x3f2aaaaa, v10
	v_add_f32_e32 v13, 0xbf2aaaaa, v12
	v_add_f32_e32 v8, 0x31739010, v8
	v_frexp_exp_i32_f64_e32 v2, v[2:3]
	v_sub_f32_e32 v10, v10, v13
	v_add_f32_e32 v3, v8, v10
	v_add_f32_e32 v8, v12, v3
	v_sub_f32_e32 v10, v12, v8
	v_add_f32_e32 v3, v3, v10
	v_mul_f32_e32 v10, v11, v8
	v_fma_f32 v12, v11, v8, -v10
	v_subbrev_co_u32_e32 v2, vcc, 0, v2, vcc
	v_cvt_f32_i32_e32 v2, v2
	v_fmac_f32_e32 v12, v11, v3
	s_mov_b32 s8, 0x3f317218
	v_fmac_f32_e32 v12, v9, v8
	v_mul_f32_e32 v3, 0x3f317218, v2
	v_fma_f32 v8, v2, s8, -v3
	v_fmac_f32_e32 v8, 0xb102e308, v2
	v_ldexp_f32 v2, v7, 1
	v_add_f32_e32 v7, v3, v8
	v_sub_f32_e32 v3, v7, v3
	v_ldexp_f32 v6, v6, 1
	v_sub_f32_e32 v3, v8, v3
	v_add_f32_e32 v8, v10, v12
	v_sub_f32_e32 v9, v8, v10
	v_add_f32_e32 v10, v6, v8
	v_sub_f32_e32 v9, v12, v9
	v_sub_f32_e32 v6, v10, v6
	;; [unrolled: 1-line block ×3, first 2 shown]
	v_add_f32_e32 v2, v2, v9
	v_add_f32_e32 v2, v2, v6
	;; [unrolled: 1-line block ×3, first 2 shown]
	v_sub_f32_e32 v8, v6, v10
	v_sub_f32_e32 v2, v2, v8
	v_add_f32_e32 v8, v7, v6
	v_sub_f32_e32 v9, v8, v7
	v_sub_f32_e32 v10, v8, v9
	;; [unrolled: 1-line block ×4, first 2 shown]
	v_add_f32_e32 v6, v6, v7
	v_add_f32_e32 v7, v3, v2
	v_sub_f32_e32 v9, v7, v3
	v_sub_f32_e32 v10, v7, v9
	;; [unrolled: 1-line block ×4, first 2 shown]
	v_add_f32_e32 v2, v2, v3
	v_add_f32_e32 v3, v7, v6
	;; [unrolled: 1-line block ×3, first 2 shown]
	v_sub_f32_e32 v7, v6, v8
	v_sub_f32_e32 v3, v3, v7
	v_add_f32_e32 v2, v2, v3
	v_add_f32_e32 v3, v6, v2
	v_sub_f32_e32 v6, v3, v6
	v_sub_f32_e32 v2, v2, v6
	v_mul_f32_e32 v6, v4, v3
	v_fma_f32 v3, v4, v3, -v6
	v_fmac_f32_e32 v3, v4, v2
	v_add_f32_e32 v2, v6, v3
	v_cmp_class_f32_e64 vcc, v6, s10
	v_sub_f32_e32 v7, v2, v6
	v_cndmask_b32_e32 v2, v2, v6, vcc
	s_mov_b32 s9, 0x42b17218
	v_mov_b32_e32 v6, 0x37000000
	v_cmp_eq_f32_e32 vcc, s9, v2
	v_cndmask_b32_e32 v6, 0, v6, vcc
	v_sub_f32_e32 v3, v3, v7
	v_sub_f32_e32 v7, v2, v6
	s_mov_b32 s11, 0x3fb8aa3b
	v_mul_f32_e32 v8, 0x3fb8aa3b, v7
	v_fma_f32 v9, v7, s11, -v8
	v_rndne_f32_e32 v10, v8
	v_fmac_f32_e32 v9, 0x32a5705f, v7
	v_sub_f32_e32 v8, v8, v10
	v_add_f32_e32 v8, v8, v9
	v_exp_f32_e32 v8, v8
	v_cvt_i32_f32_e32 v9, v10
	s_mov_b32 s8, 0x7f800000
	v_cmp_neq_f32_e64 vcc, |v2|, s8
	s_mov_b32 s8, 0xc2ce8ed0
	v_cndmask_b32_e32 v2, 0, v3, vcc
	v_ldexp_f32 v3, v8, v9
	v_cmp_ngt_f32_e32 vcc, s8, v7
	v_add_f32_e32 v2, v6, v2
	v_cndmask_b32_e32 v3, 0, v3, vcc
	v_mov_b32_e32 v6, 0x7f800000
	v_cmp_nlt_f32_e32 vcc, s9, v7
	v_cndmask_b32_e32 v3, v6, v3, vcc
	v_fma_f32 v2, v3, v2, v3
	v_cmp_class_f32_e64 vcc, v3, s10
	v_cndmask_b32_e32 v2, v2, v3, vcc
	v_trunc_f32_e32 v3, v4
	v_cmp_eq_f32_e32 vcc, v3, v4
	v_mul_f32_e32 v3, 0.5, v4
	v_trunc_f32_e32 v8, v3
	v_cmp_neq_f32_e64 s[8:9], v8, v3
	s_and_b64 s[8:9], vcc, s[8:9]
	v_cndmask_b32_e64 v3, 1.0, v5, s[8:9]
	s_brev_b32 s14, -2
	v_mov_b32_e32 v7, 0x7fc00000
	v_bfi_b32 v2, s14, v2, v3
	v_cndmask_b32_e32 v3, v7, v2, vcc
	v_cmp_gt_f32_e32 vcc, 0, v5
	v_cndmask_b32_e32 v2, v2, v3, vcc
	v_cmp_class_f32_e64 s[12:13], v5, s10
	v_cmp_eq_f32_e32 vcc, 0, v5
	v_cmp_gt_f32_e64 s[10:11], 0, v4
	s_xor_b64 s[10:11], s[10:11], vcc
	v_cndmask_b32_e64 v3, v6, 0, s[10:11]
	v_cndmask_b32_e64 v4, 0, v5, s[8:9]
	v_bfi_b32 v3, s14, v3, v4
	s_or_b64 vcc, vcc, s[12:13]
	v_cndmask_b32_e32 v2, v2, v3, vcc
	v_cmp_o_f32_e32 vcc, v5, v5
	v_cndmask_b32_e32 v92, v7, v2, vcc
.LBB28_2:
	s_load_dwordx16 s[36:51], s[4:5], 0x0
	s_lshl_b32 s33, s6, 1
	v_mov_b32_e32 v30, 0
	v_cmp_lt_u32_e64 s[20:21], 1, v1
	v_cmp_gt_u32_e32 vcc, 2, v1
	v_lshlrev_b32_e32 v88, 9, v1
	v_lshlrev_b32_e32 v90, 2, v0
	buffer_store_dword v30, off, s[0:3], 0
	buffer_store_dword v30, off, s[0:3], 0 offset:4
	buffer_store_dword v30, off, s[0:3], 0 offset:8
	;; [unrolled: 1-line block ×7, first 2 shown]
	s_and_saveexec_b64 s[18:19], vcc
	s_cbranch_execz .LBB28_17
; %bb.3:
	v_or_b32_e32 v2, s33, v1
	v_cmp_le_i32_e32 vcc, s22, v2
	v_lshl_add_u32 v4, v0, 3, v88
	v_sub_u32_e32 v2, 0, v90
	v_or_b32_e32 v6, v88, v0
	v_add_u32_e32 v7, v4, v2
	s_and_saveexec_b64 s[8:9], vcc
	s_xor_b64 s[8:9], exec, s[8:9]
	s_cbranch_execz .LBB28_7
; %bb.4:
	v_cmp_gt_u32_e32 vcc, 8, v0
	v_mov_b32_e32 v2, 0
	v_mad_u32_u24 v3, v0, 3, v6
	ds_write_b32 v7, v2
	ds_write_b32 v3, v2 offset:128
	s_and_saveexec_b64 s[10:11], vcc
; %bb.5:
	v_mov_b32_e32 v3, v2
	ds_write_b64 v4, v[2:3] offset:256
; %bb.6:
	s_or_b64 exec, exec, s[10:11]
                                        ; implicit-def: $vgpr7
                                        ; implicit-def: $vgpr6
.LBB28_7:
	s_andn2_saveexec_b64 s[8:9], s[8:9]
	s_cbranch_execz .LBB28_17
; %bb.8:
	s_load_dwordx4 s[8:11], s[4:5], 0x70
	s_waitcnt lgkmcnt(0)
	s_mul_i32 s10, s54, s10
	s_mul_i32 s11, s8, s33
	;; [unrolled: 1-line block ×3, first 2 shown]
	v_mul_lo_u32 v2, s8, v1
	s_add_i32 s8, s10, s11
	s_add_i32 s8, s8, s9
	s_ashr_i32 s9, s8, 31
	s_add_u32 s8, s36, s8
	s_addc_u32 s9, s37, s9
	v_ashrrev_i32_e32 v3, 31, v2
	v_mov_b32_e32 v4, s9
	v_add_co_u32_e32 v2, vcc, s8, v2
	v_addc_co_u32_e32 v3, vcc, v4, v3, vcc
	v_lshlrev_b32_e32 v4, 2, v90
	v_add_co_u32_e32 v2, vcc, v2, v4
	v_addc_co_u32_e32 v3, vcc, 0, v3, vcc
	global_load_dwordx4 v[16:19], v[2:3], off
	v_mbcnt_lo_u32_b32 v4, -1, 0
	v_mbcnt_hi_u32_b32 v4, -1, v4
	v_and_b32_e32 v5, 0x60, v4
	v_xor_b32_e32 v8, 4, v4
	v_add_u32_e32 v10, 32, v5
	v_cmp_lt_i32_e32 vcc, v8, v10
	v_cndmask_b32_e32 v5, v4, v8, vcc
	v_lshlrev_b32_e32 v8, 2, v5
	s_mov_b32 s10, 0x42fe0000
	s_waitcnt vmcnt(0)
	v_mul_f32_e32 v15, s16, v16
	v_mul_f32_e32 v12, s16, v17
	;; [unrolled: 1-line block ×4, first 2 shown]
	v_max_f32_e64 v9, |v15|, |v12|
	v_max3_f32 v13, v9, |v11|, |v5|
	ds_bpermute_b32 v14, v8, v13
	v_xor_b32_e32 v9, 2, v4
	v_cmp_lt_i32_e32 vcc, v9, v10
	v_cndmask_b32_e32 v9, v4, v9, vcc
	v_lshlrev_b32_e32 v9, 2, v9
	s_waitcnt lgkmcnt(0)
	v_max_f32_e32 v14, v14, v14
	v_max_f32_e32 v13, v13, v14
	ds_bpermute_b32 v14, v9, v13
	v_xor_b32_e32 v17, 1, v4
	v_cmp_lt_i32_e32 vcc, v17, v10
	v_cndmask_b32_e32 v4, v4, v17, vcc
	v_lshlrev_b32_e32 v10, 2, v4
	s_waitcnt lgkmcnt(0)
	v_max_f32_e32 v4, v14, v14
	v_max_f32_e32 v4, v13, v4
	ds_bpermute_b32 v13, v10, v4
	v_fma_f32 v16, s16, v16, v12
	v_fmac_f32_e32 v16, s16, v18
	v_fmac_f32_e32 v16, s16, v19
	s_waitcnt lgkmcnt(0)
	v_max_f32_e32 v13, v13, v13
	v_max_f32_e32 v4, v4, v13
	v_div_scale_f32 v13, s[8:9], s10, s10, v4
	v_div_scale_f32 v14, vcc, v4, s10, v4
	v_rcp_f32_e32 v17, v13
	v_fma_f32 v18, -v13, v17, 1.0
	v_fmac_f32_e32 v17, v18, v17
	v_mul_f32_e32 v18, v14, v17
	v_fma_f32 v19, -v13, v18, v14
	v_fmac_f32_e32 v18, v19, v17
	v_fma_f32 v13, -v13, v18, v14
	v_div_fmas_f32 v17, v13, v17, v18
	ds_bpermute_b32 v13, v8, v16
	s_waitcnt lgkmcnt(0)
	v_add_f32_e32 v13, v16, v13
	ds_bpermute_b32 v14, v9, v13
	v_mov_b32_e32 v16, 0
	s_waitcnt lgkmcnt(0)
	v_add_f32_e32 v13, v13, v14
	ds_bpermute_b32 v14, v10, v13
	v_div_fixup_f32 v4, v17, s10, v4
	v_cmp_neq_f32_e32 vcc, 0, v4
	s_and_saveexec_b64 s[14:15], vcc
	s_cbranch_execz .LBB28_10
; %bb.9:
	v_div_scale_f32 v16, s[8:9], v4, v4, v15
	v_div_scale_f32 v19, vcc, v15, v4, v15
	v_div_scale_f32 v17, s[8:9], v4, v4, v12
	v_div_scale_f32 v18, s[8:9], v4, v4, v11
	v_div_scale_f32 v20, s[8:9], v12, v4, v12
	v_div_scale_f32 v23, s[12:13], v4, v4, v5
	v_div_scale_f32 v21, s[10:11], v11, v4, v11
	s_brev_b32 s17, -2
	v_rcp_f32_e32 v22, v16
	v_rcp_f32_e32 v24, v17
	v_fma_f32 v26, -v16, v22, 1.0
	v_fmac_f32_e32 v22, v26, v22
	v_mul_f32_e32 v26, v19, v22
	v_fma_f32 v27, -v16, v26, v19
	v_fmac_f32_e32 v26, v27, v22
	v_fma_f32 v16, -v16, v26, v19
	v_div_fmas_f32 v16, v16, v22, v26
	v_div_scale_f32 v19, s[12:13], v5, v4, v5
	v_fma_f32 v22, -v17, v24, 1.0
	v_fmac_f32_e32 v24, v22, v24
	v_mul_f32_e32 v22, v20, v24
	v_fma_f32 v27, -v17, v22, v20
	v_fmac_f32_e32 v22, v27, v24
	v_rcp_f32_e32 v25, v18
	v_fma_f32 v17, -v17, v22, v20
	s_mov_b64 vcc, s[8:9]
	v_div_fmas_f32 v17, v17, v24, v22
	v_fma_f32 v26, -v18, v25, 1.0
	v_fmac_f32_e32 v25, v26, v25
	v_mul_f32_e32 v26, v21, v25
	v_fma_f32 v28, -v18, v26, v21
	v_div_fixup_f32 v15, v16, v4, v15
	v_trunc_f32_e32 v16, v15
	v_sub_f32_e32 v20, v15, v16
	v_cmp_ge_f32_e64 s[8:9], |v20|, 0.5
	v_cndmask_b32_e64 v20, 0, 1.0, s[8:9]
	v_bfi_b32 v15, s17, v20, v15
	v_add_f32_e32 v15, v16, v15
	v_rcp_f32_e32 v16, v23
	v_fmac_f32_e32 v26, v28, v25
	v_fma_f32 v18, -v18, v26, v21
	s_mov_b64 vcc, s[10:11]
	v_fma_f32 v20, -v23, v16, 1.0
	v_fmac_f32_e32 v16, v20, v16
	v_div_fmas_f32 v18, v18, v25, v26
	v_mul_f32_e32 v20, v19, v16
	v_fma_f32 v21, -v23, v20, v19
	v_fmac_f32_e32 v20, v21, v16
	v_fma_f32 v19, -v23, v20, v19
	s_mov_b64 vcc, s[12:13]
	v_div_fmas_f32 v16, v19, v16, v20
	v_div_fixup_f32 v12, v17, v4, v12
	v_trunc_f32_e32 v17, v12
	v_sub_f32_e32 v19, v12, v17
	v_cmp_ge_f32_e64 s[8:9], |v19|, 0.5
	v_cndmask_b32_e64 v19, 0, 1.0, s[8:9]
	v_bfi_b32 v12, s17, v19, v12
	v_add_f32_e32 v12, v17, v12
	v_cvt_i32_f32_e32 v15, v15
	v_cvt_i32_f32_e32 v12, v12
	v_div_fixup_f32 v11, v18, v4, v11
	v_trunc_f32_e32 v17, v11
	v_sub_f32_e32 v18, v11, v17
	v_cmp_ge_f32_e64 s[8:9], |v18|, 0.5
	v_cndmask_b32_e64 v18, 0, 1.0, s[8:9]
	v_bfi_b32 v11, s17, v18, v11
	v_div_fixup_f32 v5, v16, v4, v5
	v_trunc_f32_e32 v16, v5
	v_add_f32_e32 v11, v17, v11
	v_sub_f32_e32 v17, v5, v16
	v_cmp_ge_f32_e64 s[8:9], |v17|, 0.5
	v_cndmask_b32_e64 v17, 0, 1.0, s[8:9]
	v_cvt_i32_f32_e32 v11, v11
	v_bfi_b32 v5, s17, v17, v5
	v_add_f32_e32 v5, v16, v5
	v_cvt_i32_f32_e32 v5, v5
	v_and_b32_e32 v11, 0xff, v11
	v_lshlrev_b32_e32 v11, 16, v11
	v_lshl_or_b32 v5, v5, 24, v11
	v_mov_b32_e32 v11, 8
	v_lshlrev_b32_sdwa v11, v11, v12 dst_sel:DWORD dst_unused:UNUSED_PAD src0_sel:DWORD src1_sel:BYTE_0
	v_and_b32_e32 v12, 0xff, v15
	v_or3_b32 v16, v5, v11, v12
.LBB28_10:
	s_or_b64 exec, exec, s[14:15]
	v_and_b32_e32 v5, 7, v0
	v_cmp_eq_u32_e64 s[8:9], 0, v5
	ds_write_b32 v7, v16
	s_and_saveexec_b64 s[10:11], s[8:9]
	s_cbranch_execz .LBB28_12
; %bb.11:
	s_waitcnt lgkmcnt(1)
	v_add_f32_e32 v5, v13, v14
	ds_write_b64 v6, v[4:5] offset:256
.LBB28_12:
	s_or_b64 exec, exec, s[10:11]
	s_waitcnt lgkmcnt(1)
	global_load_dwordx4 v[12:15], v[2:3], off offset:512
	s_mov_b32 s12, 0x42fe0000
	s_waitcnt vmcnt(0)
	v_mul_f32_e32 v11, s16, v12
	v_mul_f32_e32 v5, s16, v13
	;; [unrolled: 1-line block ×4, first 2 shown]
	v_max_f32_e64 v2, |v11|, |v5|
	v_max3_f32 v2, v2, |v4|, |v3|
	ds_bpermute_b32 v13, v8, v2
	v_fma_f32 v12, s16, v12, v5
	v_fmac_f32_e32 v12, s16, v14
	v_fmac_f32_e32 v12, s16, v15
	ds_bpermute_b32 v8, v8, v12
	s_waitcnt lgkmcnt(1)
	v_max_f32_e32 v13, v13, v13
	v_max_f32_e32 v2, v2, v13
	ds_bpermute_b32 v13, v9, v2
	s_waitcnt lgkmcnt(1)
	v_add_f32_e32 v8, v12, v8
	ds_bpermute_b32 v9, v9, v8
	s_waitcnt lgkmcnt(1)
	v_max_f32_e32 v13, v13, v13
	v_max_f32_e32 v2, v2, v13
	ds_bpermute_b32 v13, v10, v2
	s_waitcnt lgkmcnt(1)
	v_add_f32_e32 v8, v8, v9
	ds_bpermute_b32 v9, v10, v8
	v_mov_b32_e32 v10, 0
	s_waitcnt lgkmcnt(1)
	v_max_f32_e32 v13, v13, v13
	v_max_f32_e32 v2, v2, v13
	v_div_scale_f32 v13, s[10:11], s12, s12, v2
	v_div_scale_f32 v16, vcc, v2, s12, v2
	v_rcp_f32_e32 v17, v13
	v_fma_f32 v14, -v13, v17, 1.0
	v_fmac_f32_e32 v17, v14, v17
	v_mul_f32_e32 v14, v16, v17
	v_fma_f32 v18, -v13, v14, v16
	v_fmac_f32_e32 v14, v18, v17
	v_fma_f32 v13, -v13, v14, v16
	v_div_fmas_f32 v13, v13, v17, v14
	v_div_fixup_f32 v2, v13, s12, v2
	v_cmp_neq_f32_e32 vcc, 0, v2
	s_and_saveexec_b64 s[16:17], vcc
	s_cbranch_execz .LBB28_14
; %bb.13:
	v_div_scale_f32 v10, s[10:11], v2, v2, v11
	v_div_scale_f32 v14, vcc, v11, v2, v11
	v_div_scale_f32 v12, s[10:11], v2, v2, v5
	v_div_scale_f32 v13, s[10:11], v2, v2, v4
	;; [unrolled: 1-line block ×5, first 2 shown]
	s_brev_b32 s25, -2
	v_rcp_f32_e32 v17, v10
	v_rcp_f32_e32 v19, v12
	v_fma_f32 v21, -v10, v17, 1.0
	v_fmac_f32_e32 v17, v21, v17
	v_mul_f32_e32 v21, v14, v17
	v_fma_f32 v22, -v10, v21, v14
	v_fmac_f32_e32 v21, v22, v17
	v_fma_f32 v10, -v10, v21, v14
	v_div_fmas_f32 v10, v10, v17, v21
	v_div_scale_f32 v14, s[14:15], v3, v2, v3
	v_fma_f32 v17, -v12, v19, 1.0
	v_fmac_f32_e32 v19, v17, v19
	v_mul_f32_e32 v17, v15, v19
	v_fma_f32 v22, -v12, v17, v15
	v_fmac_f32_e32 v17, v22, v19
	v_rcp_f32_e32 v20, v13
	v_fma_f32 v12, -v12, v17, v15
	s_mov_b64 vcc, s[10:11]
	v_div_fmas_f32 v12, v12, v19, v17
	v_fma_f32 v21, -v13, v20, 1.0
	v_fmac_f32_e32 v20, v21, v20
	v_mul_f32_e32 v21, v16, v20
	v_fma_f32 v23, -v13, v21, v16
	v_div_fixup_f32 v10, v10, v2, v11
	v_trunc_f32_e32 v11, v10
	v_sub_f32_e32 v15, v10, v11
	v_cmp_ge_f32_e64 s[10:11], |v15|, 0.5
	v_cndmask_b32_e64 v15, 0, 1.0, s[10:11]
	v_bfi_b32 v10, s25, v15, v10
	v_add_f32_e32 v10, v11, v10
	v_rcp_f32_e32 v11, v18
	v_fmac_f32_e32 v21, v23, v20
	v_fma_f32 v13, -v13, v21, v16
	s_mov_b64 vcc, s[12:13]
	v_fma_f32 v15, -v18, v11, 1.0
	v_fmac_f32_e32 v11, v15, v11
	v_div_fmas_f32 v13, v13, v20, v21
	v_mul_f32_e32 v15, v14, v11
	v_fma_f32 v16, -v18, v15, v14
	v_fmac_f32_e32 v15, v16, v11
	v_fma_f32 v14, -v18, v15, v14
	s_mov_b64 vcc, s[14:15]
	v_div_fmas_f32 v11, v14, v11, v15
	v_div_fixup_f32 v5, v12, v2, v5
	v_trunc_f32_e32 v12, v5
	v_sub_f32_e32 v14, v5, v12
	v_cmp_ge_f32_e64 s[10:11], |v14|, 0.5
	v_cndmask_b32_e64 v14, 0, 1.0, s[10:11]
	v_bfi_b32 v5, s25, v14, v5
	v_add_f32_e32 v5, v12, v5
	v_cvt_i32_f32_e32 v10, v10
	v_cvt_i32_f32_e32 v5, v5
	v_div_fixup_f32 v4, v13, v2, v4
	v_trunc_f32_e32 v12, v4
	v_sub_f32_e32 v13, v4, v12
	v_cmp_ge_f32_e64 s[10:11], |v13|, 0.5
	v_cndmask_b32_e64 v13, 0, 1.0, s[10:11]
	v_bfi_b32 v4, s25, v13, v4
	v_div_fixup_f32 v3, v11, v2, v3
	v_trunc_f32_e32 v11, v3
	v_add_f32_e32 v4, v12, v4
	v_sub_f32_e32 v12, v3, v11
	v_cmp_ge_f32_e64 s[10:11], |v12|, 0.5
	v_cndmask_b32_e64 v12, 0, 1.0, s[10:11]
	v_cvt_i32_f32_e32 v4, v4
	v_bfi_b32 v3, s25, v12, v3
	v_add_f32_e32 v3, v11, v3
	v_cvt_i32_f32_e32 v3, v3
	v_and_b32_e32 v4, 0xff, v4
	v_lshlrev_b32_e32 v4, 16, v4
	v_lshl_or_b32 v3, v3, 24, v4
	v_mov_b32_e32 v4, 8
	v_lshlrev_b32_sdwa v4, v4, v5 dst_sel:DWORD dst_unused:UNUSED_PAD src0_sel:DWORD src1_sel:BYTE_0
	v_and_b32_e32 v5, 0xff, v10
	v_or3_b32 v10, v3, v4, v5
.LBB28_14:
	s_or_b64 exec, exec, s[16:17]
	ds_write_b32 v7, v10 offset:128
	s_and_saveexec_b64 s[10:11], s[8:9]
	s_cbranch_execz .LBB28_16
; %bb.15:
	s_waitcnt lgkmcnt(1)
	v_add_f32_e32 v3, v8, v9
	ds_write_b64 v6, v[2:3] offset:288
.LBB28_16:
	s_or_b64 exec, exec, s[10:11]
.LBB28_17:
	s_or_b64 exec, exec, s[18:19]
	v_and_b32_e32 v34, 3, v0
	v_lshlrev_b32_e32 v2, 2, v34
	s_waitcnt vmcnt(0) lgkmcnt(0)
	s_barrier
	ds_read2_b32 v[50:51], v2 offset1:4
	ds_read2_b32 v[52:53], v2 offset0:8 offset1:12
	ds_read2_b32 v[54:55], v2 offset0:16 offset1:20
	;; [unrolled: 1-line block ×15, first 2 shown]
	ds_read_b128 v[2:5], v30 offset:256
	ds_read_b128 v[6:9], v30 offset:272
	;; [unrolled: 1-line block ×8, first 2 shown]
	s_cmp_eq_u64 s[46:47], 0
	s_mov_b32 s25, s52
	s_waitcnt lgkmcnt(0)
	s_barrier
	s_cbranch_scc1 .LBB28_19
; %bb.18:
	s_load_dword s8, s[4:5], 0xd0
	s_mov_b32 s9, 0
	s_waitcnt lgkmcnt(0)
	s_mul_i32 s8, s8, s54
	s_add_i32 s8, s8, s6
	s_lshl_b64 s[8:9], s[8:9], 2
	s_add_u32 s8, s46, s8
	s_addc_u32 s9, s47, s9
	s_load_dword s25, s[8:9], 0x0
.LBB28_19:
	v_lshlrev_b32_e32 v35, 5, v1
	v_add_u32_e32 v89, v35, v0
	s_lshl_b32 s26, s7, 7
	s_mov_b32 s29, 0
	s_waitcnt lgkmcnt(0)
	s_cmp_ge_i32 s26, s25
	v_mbcnt_lo_u32_b32 v95, -1, 0
	v_lshlrev_b32_e32 v91, 1, v89
	s_cbranch_scc1 .LBB28_39
; %bb.20:
	s_sub_i32 s6, 0, s30
	s_sub_i32 s8, 0, s28
	s_load_dwordx2 s[14:15], s[4:5], 0x8c
	s_load_dwordx4 s[16:19], s[4:5], 0x98
	s_mul_i32 s6, s6, s35
	s_mul_i32 s8, s8, s34
	s_mul_hi_u32 s6, s35, s6
	s_mul_hi_u32 s8, s34, s8
	s_add_i32 s35, s35, s6
	s_abs_i32 s6, s54
	s_add_i32 s34, s34, s8
	s_abs_i32 s10, s24
	s_mul_hi_u32 s12, s6, s34
	s_ashr_i32 s34, s54, 31
	s_mul_hi_u32 s11, s10, s35
	s_waitcnt lgkmcnt(0)
	s_mul_hi_u32 s35, s16, s54
	s_mul_i32 s36, s16, s34
	s_add_i32 s35, s35, s36
	s_mul_i32 s17, s17, s54
	s_add_i32 s35, s35, s17
	s_mul_i32 s17, s11, s30
	s_ashr_i32 s13, s24, 31
	s_ashr_i32 s31, s31, 31
	s_sub_i32 s10, s10, s17
	s_xor_b32 s13, s13, s31
	s_add_i32 s17, s11, 1
	s_sub_i32 s31, s10, s30
	s_cmp_ge_u32 s10, s30
	s_cselect_b32 s11, s17, s11
	s_cselect_b32 s10, s31, s10
	s_add_i32 s17, s11, 1
	s_cmp_ge_u32 s10, s30
	s_cselect_b32 s10, s17, s11
	s_xor_b32 s10, s10, s13
	s_load_dwordx2 s[8:9], s[4:5], 0xa8
	s_sub_i32 s13, s10, s13
	s_mul_i32 s10, s13, s15
	s_mul_i32 s16, s16, s54
	s_ashr_i32 s11, s10, 31
	s_add_u32 s15, s38, s16
	s_addc_u32 s16, s39, s35
	s_add_u32 s15, s15, s10
	s_waitcnt lgkmcnt(0)
	s_mul_hi_u32 s30, s8, s54
	s_mul_i32 s31, s8, s34
	s_addc_u32 s16, s16, s11
	s_add_i32 s30, s30, s31
	s_mul_i32 s9, s9, s54
	s_mul_i32 s13, s13, s19
	s_add_i32 s30, s30, s9
	s_mul_i32 s8, s8, s54
	s_ashr_i32 s9, s13, 31
	s_add_u32 s8, s40, s8
	s_addc_u32 s19, s41, s30
	s_add_u32 s13, s8, s13
	s_mul_i32 s12, s12, s28
	s_addc_u32 s19, s19, s9
	s_sub_i32 s6, s6, s12
	s_sub_i32 s8, s6, s28
	s_cmp_ge_u32 s6, s28
	s_cselect_b32 s6, s8, s6
	s_sub_i32 s8, s6, s28
	s_cmp_ge_u32 s6, s28
	s_load_dwordx2 s[10:11], s[4:5], 0xc8
	s_load_dword s17, s[4:5], 0xd4
	s_cselect_b32 s6, s8, s6
	s_xor_b32 s6, s6, s34
	s_sub_i32 s6, s6, s34
	v_mul_lo_u32 v110, v35, s18
	s_ashr_i32 s8, s6, 31
	s_waitcnt lgkmcnt(0)
	s_mul_i32 s8, s10, s8
	s_mul_hi_u32 s9, s10, s6
	s_add_i32 s8, s9, s8
	s_mul_i32 s9, s11, s6
	s_add_i32 s8, s8, s9
	s_mul_i32 s6, s10, s6
	v_add_u32_e32 v118, s18, v110
	s_add_u32 s6, s42, s6
	s_mul_i32 s9, s27, s33
	v_add_u32_e32 v120, s18, v118
	s_addc_u32 s8, s43, s8
	s_ashr_i32 s10, s9, 31
	v_add_u32_e32 v122, s18, v120
	s_add_u32 s6, s6, s9
	s_mov_b32 s27, s29
	v_add_u32_e32 v124, s18, v122
	s_addc_u32 s10, s8, s10
	s_lshl_b64 s[8:9], s[26:27], 1
	v_add_u32_e32 v126, s18, v124
	s_add_u32 s30, s6, s8
	v_add_u32_e32 v128, s18, v126
	s_addc_u32 s31, s10, s9
	s_mul_i32 s6, s18, s26
	v_add_u32_e32 v130, s18, v128
	s_add_u32 s6, s13, s6
	v_add_u32_e32 v132, s18, v130
	s_addc_u32 s27, s19, 0
	s_mul_i32 s8, s14, s26
	v_add_u32_e32 v134, s18, v132
	s_add_u32 s38, s15, s8
	v_and_b32_e32 v36, 0x7c, v0
	v_mbcnt_hi_u32_b32 v38, -1, v95
	v_add_u32_e32 v136, s18, v134
	s_addc_u32 s39, s16, 0
	v_add_u32_e32 v96, v35, v36
	v_and_b32_e32 v36, 0x7c, v38
	v_add_u32_e32 v138, s18, v136
	v_add_u32_e32 v36, 4, v36
	v_xor_b32_e32 v37, 2, v38
	s_cmp_lg_u64 s[42:43], 0
	v_add_u32_e32 v140, s18, v138
	v_cmp_lt_i32_e32 vcc, v37, v36
	s_cselect_b64 s[10:11], -1, 0
	v_mul_lo_u32 v100, v96, s14
	s_lshl_b32 s28, s17, 7
	v_add_u32_e32 v142, s18, v140
	v_cndmask_b32_e32 v37, v38, v37, vcc
	s_cmp_lt_i32 s33, s22
	v_add_u32_e32 v144, s18, v142
	v_lshlrev_b32_e32 v98, 2, v37
	v_xor_b32_e32 v37, 1, v38
	s_cselect_b64 s[12:13], -1, 0
	v_add_u32_e32 v146, s18, v144
	v_cmp_lt_i32_e32 vcc, v37, v36
	s_and_b64 s[34:35], s[10:11], s[12:13]
	s_or_b32 s12, s33, 1
	v_add_u32_e32 v148, s18, v146
	v_cndmask_b32_e32 v36, v38, v37, vcc
	s_cmp_lt_i32 s12, s22
	v_add_u32_e32 v102, s14, v100
	v_add_u32_e32 v150, s18, v148
	v_lshlrev_b32_e32 v99, 2, v36
	v_and_b32_e32 v36, 0x60, v38
	s_cselect_b64 s[12:13], -1, 0
	v_add_u32_e32 v104, s14, v102
	v_add_u32_e32 v152, s18, v150
	v_add_u32_e32 v39, 32, v36
	s_mul_i32 s40, s28, s14
	v_cmp_eq_u32_e64 s[8:9], 0, v34
	s_and_b64 s[36:37], s[10:11], s[12:13]
	v_cmp_eq_u32_e64 s[10:11], 1, v34
	v_cmp_eq_u32_e64 s[12:13], 2, v34
	v_add_u32_e32 v106, s14, v104
	v_cmp_eq_u32_e64 s[14:15], 3, v34
	v_xor_b32_e32 v34, 4, v38
	v_add_u32_e32 v154, s18, v152
	v_cmp_lt_i32_e32 vcc, v34, v39
	v_add_u32_e32 v156, s18, v154
	v_cndmask_b32_e32 v34, v38, v34, vcc
	v_add_u32_e32 v158, s18, v156
	v_lshlrev_b32_e32 v108, 2, v34
	v_xor_b32_e32 v34, 8, v38
	v_add_u32_e32 v160, s18, v158
	v_cmp_lt_i32_e32 vcc, v34, v39
	v_add_u32_e32 v162, s18, v160
	v_cndmask_b32_e32 v34, v38, v34, vcc
	v_add_u32_e32 v164, s18, v162
	v_lshlrev_b32_e32 v109, 2, v34
	;; [unrolled: 7-line block ×3, first 2 shown]
	v_add_u32_e32 v34, 0x80, v90
	s_ashr_i32 s16, s52, 31
	v_add_u32_e32 v172, s18, v170
	v_add_u32_e32 v36, s52, v96
	v_lshlrev_b32_e32 v112, 1, v35
	v_lshrrev_b32_e32 v116, 5, v34
	v_and_b32_e32 v117, 28, v34
	v_mov_b32_e32 v35, s16
	v_add_co_u32_e32 v34, vcc, s52, v96
	v_add_u32_e32 v174, s18, v172
	v_ashrrev_i32_e32 v37, 31, v36
	v_addc_co_u32_e32 v35, vcc, 0, v35, vcc
	v_add_u32_e32 v176, s18, v174
	v_lshlrev_b64 v[82:83], 1, v[36:37]
	v_lshlrev_b64 v[84:85], 1, v[34:35]
	v_add_u32_e32 v178, s18, v176
	v_and_b32_e32 v97, 12, v90
	v_mov_b32_e32 v93, 0
	s_mul_i32 s41, s28, s18
	v_ashrrev_i32_e32 v101, 31, v100
	v_ashrrev_i32_e32 v103, 31, v102
	;; [unrolled: 1-line block ×5, first 2 shown]
	v_bfe_u32 v114, v0, 3, 27
	v_and_b32_e32 v115, 28, v90
	v_ashrrev_i32_e32 v119, 31, v118
	v_ashrrev_i32_e32 v121, 31, v120
	;; [unrolled: 1-line block ×25, first 2 shown]
	s_mov_b32 s42, 0x3fb8aa3b
	s_mov_b32 s43, 0xc2ce8ed0
	;; [unrolled: 1-line block ×4, first 2 shown]
	v_ashrrev_i32_e32 v169, 31, v168
	v_ashrrev_i32_e32 v171, 31, v170
	;; [unrolled: 1-line block ×6, first 2 shown]
	v_mov_b32_e32 v35, 0xfeffffff
	v_mov_b32_e32 v180, 0x7f800000
	;; [unrolled: 1-line block ×6, first 2 shown]
.LBB28_21:                              ; =>This Inner Loop Header: Depth=1
	v_mov_b32_e32 v37, s39
	v_add_co_u32_e32 v36, vcc, s38, v100
	v_addc_co_u32_e32 v37, vcc, v37, v101, vcc
	v_add_co_u32_e32 v38, vcc, v36, v97
	v_addc_co_u32_e32 v39, vcc, 0, v37, vcc
	global_load_dword v40, v[38:39], off offset:2
	global_load_dword v41, v[38:39], off offset:20
	;; [unrolled: 1-line block ×7, first 2 shown]
	s_nop 0
	global_load_dword v38, v[38:39], off offset:128
	s_nop 0
	global_load_ushort v183, v[36:37], off
	global_load_ushort v184, v[36:37], off offset:18
	global_load_ushort v185, v[36:37], off offset:36
	;; [unrolled: 1-line block ×7, first 2 shown]
	s_and_b64 vcc, exec, s[34:35]
	s_waitcnt vmcnt(15)
	v_and_b32_e32 v190, 0xf0f0f0f, v40
	v_lshrrev_b32_e32 v36, 4, v40
	v_and_b32_e32 v192, 0xf0f0f0f, v36
	v_dot4_i32_i8 v36, v190, v50, 0
	s_waitcnt vmcnt(14)
	v_and_b32_e32 v86, 0xf0f0f0f, v41
	v_lshrrev_b32_e32 v39, 4, v41
	v_cvt_f32_i32_e32 v36, v36
	s_waitcnt vmcnt(8)
	v_and_b32_e32 v37, 0xf0f0f0f, v38
	v_lshrrev_b32_e32 v38, 4, v38
	v_dot4_i32_i8 v198, v192, v51, 0
	v_and_b32_e32 v191, 0xf0f0f0f, v39
	v_and_b32_e32 v39, 0xf0f0f0f, v38
	v_dot4_i32_i8 v38, v86, v52, 0
	v_cvt_f32_i32_e32 v198, v198
	v_and_b32_e32 v48, 0xf0f0f0f, v42
	v_lshrrev_b32_e32 v41, 4, v42
	v_and_b32_e32 v46, 0xf0f0f0f, v43
	v_lshrrev_b32_e32 v43, 4, v43
	v_lshrrev_b32_e32 v193, 4, v47
	v_cvt_f32_i32_e32 v38, v38
	v_dot4_i32_i8 v199, v191, v53, 0
	v_and_b32_e32 v42, 0xf0f0f0f, v47
	v_and_b32_e32 v40, 0xf0f0f0f, v49
	v_lshrrev_b32_e32 v194, 4, v49
	v_and_b32_e32 v49, 0xf0f0f0f, v41
	v_and_b32_e32 v47, 0xf0f0f0f, v43
	v_and_b32_e32 v43, 0xf0f0f0f, v193
	v_dot4_i32_i8 v193, v48, v54, 0
	v_cvt_f32_i32_e32 v199, v199
	v_cvt_f32_i32_e32 v193, v193
	v_dot4_i32_i8 v200, v49, v55, 0
	v_fma_f32 v36, v2, v36, -v3
	v_and_b32_e32 v41, 0xf0f0f0f, v194
	v_dot4_i32_i8 v194, v46, v56, 0
	v_cvt_f32_i32_e32 v200, v200
	s_waitcnt vmcnt(7)
	v_fma_mix_f32 v36, v36, v183, 0 op_sel_hi:[0,1,0]
	v_fma_f32 v198, v2, v198, -v3
	v_and_b32_e32 v44, 0xf0f0f0f, v45
	v_lshrrev_b32_e32 v45, 4, v45
	v_dot4_i32_i8 v201, v47, v57, 0
	v_cvt_f32_i32_e32 v194, v194
	v_fma_f32 v38, v4, v38, -v5
	v_fma_mix_f32 v36, v198, v183, v36 op_sel_hi:[0,1,0]
	v_and_b32_e32 v45, 0xf0f0f0f, v45
	v_dot4_i32_i8 v195, v44, v58, 0
	v_cvt_f32_i32_e32 v201, v201
	v_fma_f32 v199, v4, v199, -v5
	s_waitcnt vmcnt(6)
	v_fma_mix_f32 v36, v38, v184, v36 op_sel_hi:[0,1,0]
	v_dot4_i32_i8 v202, v45, v59, 0
	v_cvt_f32_i32_e32 v195, v195
	v_fma_f32 v193, v6, v193, -v7
	v_fma_mix_f32 v36, v199, v184, v36 op_sel_hi:[0,1,0]
	v_dot4_i32_i8 v196, v42, v60, 0
	v_cvt_f32_i32_e32 v202, v202
	v_fma_f32 v200, v6, v200, -v7
	s_waitcnt vmcnt(5)
	v_fma_mix_f32 v36, v193, v185, v36 op_sel_hi:[0,1,0]
	v_dot4_i32_i8 v203, v43, v61, 0
	v_cvt_f32_i32_e32 v196, v196
	v_fma_f32 v194, v8, v194, -v9
	v_fma_mix_f32 v36, v200, v185, v36 op_sel_hi:[0,1,0]
	;; [unrolled: 9-line block ×3, first 2 shown]
	v_cvt_f32_i32_e32 v204, v204
	v_fma_f32 v202, v10, v202, -v11
	s_waitcnt vmcnt(3)
	v_fma_mix_f32 v36, v195, v187, v36 op_sel_hi:[0,1,0]
	v_dot4_i32_i8 v193, v37, v64, 0
	v_fma_f32 v196, v12, v196, -v13
	v_fma_mix_f32 v36, v202, v187, v36 op_sel_hi:[0,1,0]
	v_dot4_i32_i8 v194, v39, v65, 0
	v_cvt_f32_i32_e32 v193, v193
	v_fma_f32 v203, v12, v203, -v13
	s_waitcnt vmcnt(2)
	v_fma_mix_f32 v36, v196, v188, v36 op_sel_hi:[0,1,0]
	v_cvt_f32_i32_e32 v194, v194
	v_fma_mix_f32 v36, v203, v188, v36 op_sel_hi:[0,1,0]
	v_fma_f32 v38, v14, v197, -v15
	v_fma_f32 v204, v14, v204, -v15
	s_waitcnt vmcnt(1)
	v_fma_mix_f32 v36, v38, v189, v36 op_sel_hi:[0,1,0]
	v_fma_mix_f32 v36, v204, v189, v36 op_sel_hi:[0,1,0]
	v_fma_f32 v193, v16, v193, -v17
	v_fma_f32 v38, v16, v194, -v17
	s_waitcnt vmcnt(0)
	v_fma_mix_f32 v36, v193, v87, v36 op_sel_hi:[0,1,0]
	v_fma_mix_f32 v36, v38, v87, v36 op_sel_hi:[0,1,0]
	ds_bpermute_b32 v38, v98, v36
	s_waitcnt lgkmcnt(0)
	v_add_f32_e32 v36, v36, v38
	ds_bpermute_b32 v38, v99, v36
	s_waitcnt lgkmcnt(0)
	v_add_f32_e32 v36, v36, v38
	v_lshlrev_b32_e32 v38, 1, v96
	s_cbranch_vccz .LBB28_23
; %bb.22:                               ;   in Loop: Header=BB28_21 Depth=1
	global_load_ushort v193, v38, s[30:31]
	s_waitcnt vmcnt(0)
	v_fma_mix_f32 v36, v92, v193, v36 op_sel_hi:[0,1,0]
.LBB28_23:                              ;   in Loop: Header=BB28_21 Depth=1
	v_dot4_i32_i8 v190, v190, v66, 0
	v_cvt_f32_i32_e32 v190, v190
	v_dot4_i32_i8 v192, v192, v67, 0
	v_cvt_f32_f16_e32 v183, v183
	v_cvt_f32_i32_e32 v192, v192
	v_dot4_i32_i8 v86, v86, v68, 0
	v_cvt_f32_i32_e32 v86, v86
	v_dot4_i32_i8 v191, v191, v69, 0
	v_cvt_f32_f16_e32 v184, v184
	v_cvt_f32_i32_e32 v191, v191
	v_dot4_i32_i8 v48, v48, v70, 0
	v_fma_f32 v190, v18, v190, -v19
	v_cvt_f32_i32_e32 v48, v48
	v_dot4_i32_i8 v49, v49, v71, 0
	v_cvt_f32_f16_e32 v185, v185
	v_fma_f32 v190, v190, v183, 0
	v_fma_f32 v192, v18, v192, -v19
	v_cvt_f32_i32_e32 v49, v49
	v_dot4_i32_i8 v46, v46, v72, 0
	v_fmac_f32_e32 v190, v192, v183
	v_fma_f32 v86, v20, v86, -v21
	v_cvt_f32_i32_e32 v46, v46
	v_dot4_i32_i8 v47, v47, v73, 0
	v_cvt_f32_f16_e32 v186, v186
	v_fmac_f32_e32 v190, v86, v184
	v_fma_f32 v86, v20, v191, -v21
	v_cvt_f32_i32_e32 v47, v47
	v_dot4_i32_i8 v44, v44, v74, 0
	v_fmac_f32_e32 v190, v86, v184
	v_fma_f32 v48, v22, v48, -v23
	v_cvt_f32_i32_e32 v44, v44
	v_dot4_i32_i8 v45, v45, v75, 0
	v_cvt_f32_f16_e32 v187, v187
	v_fmac_f32_e32 v190, v48, v185
	;; [unrolled: 9-line block ×5, first 2 shown]
	v_fma_f32 v42, v28, v43, -v29
	v_cvt_f32_i32_e32 v39, v39
	v_fmac_f32_e32 v190, v42, v188
	v_fma_f32 v40, v30, v40, -v31
	v_fmac_f32_e32 v190, v40, v189
	v_fma_f32 v40, v30, v41, -v31
	;; [unrolled: 2-line block ×4, first 2 shown]
	v_fmac_f32_e32 v190, v37, v87
	ds_bpermute_b32 v37, v98, v190
	v_cndmask_b32_e64 v40, 0, 1, s[36:37]
	v_cmp_ne_u32_e64 s[16:17], 1, v40
	s_andn2_b64 vcc, exec, s[36:37]
	s_waitcnt lgkmcnt(0)
	v_add_f32_e32 v37, v190, v37
	ds_bpermute_b32 v39, v99, v37
	s_waitcnt lgkmcnt(0)
	v_add_f32_e32 v37, v37, v39
	s_cbranch_vccnz .LBB28_25
; %bb.24:                               ;   in Loop: Header=BB28_21 Depth=1
	v_mov_b32_e32 v40, s31
	v_add_co_u32_e32 v39, vcc, s30, v82
	v_addc_co_u32_e32 v40, vcc, v40, v83, vcc
	global_load_ushort v39, v[39:40], off
	s_waitcnt vmcnt(0)
	v_fma_mix_f32 v37, v92, v39, v37 op_sel_hi:[0,1,0]
.LBB28_25:                              ;   in Loop: Header=BB28_21 Depth=1
	v_mov_b32_e32 v40, s39
	v_add_co_u32_e32 v39, vcc, s38, v102
	v_addc_co_u32_e32 v40, vcc, v40, v103, vcc
	v_add_co_u32_e32 v41, vcc, v39, v97
	v_addc_co_u32_e32 v42, vcc, 0, v40, vcc
	global_load_dword v43, v[41:42], off offset:2
	global_load_dword v44, v[41:42], off offset:20
	;; [unrolled: 1-line block ×7, first 2 shown]
	s_nop 0
	global_load_dword v41, v[41:42], off offset:128
	s_nop 0
	global_load_ushort v185, v[39:40], off
	global_load_ushort v186, v[39:40], off offset:18
	global_load_ushort v187, v[39:40], off offset:36
	;; [unrolled: 1-line block ×7, first 2 shown]
	s_andn2_b64 vcc, exec, s[34:35]
	s_waitcnt vmcnt(15)
	v_and_b32_e32 v192, 0xf0f0f0f, v43
	v_lshrrev_b32_e32 v39, 4, v43
	v_and_b32_e32 v194, 0xf0f0f0f, v39
	v_dot4_i32_i8 v39, v192, v50, 0
	s_waitcnt vmcnt(14)
	v_and_b32_e32 v183, 0xf0f0f0f, v44
	v_lshrrev_b32_e32 v43, 4, v44
	s_waitcnt vmcnt(12)
	v_lshrrev_b32_e32 v195, 4, v46
	v_cvt_f32_i32_e32 v39, v39
	v_dot4_i32_i8 v201, v194, v51, 0
	s_waitcnt vmcnt(10)
	v_and_b32_e32 v44, 0xf0f0f0f, v49
	v_lshrrev_b32_e32 v196, 4, v49
	v_and_b32_e32 v193, 0xf0f0f0f, v43
	v_and_b32_e32 v49, 0xf0f0f0f, v195
	v_dot4_i32_i8 v195, v183, v52, 0
	v_cvt_f32_i32_e32 v201, v201
	v_and_b32_e32 v86, 0xf0f0f0f, v45
	v_lshrrev_b32_e32 v45, 4, v45
	v_cvt_f32_i32_e32 v195, v195
	v_dot4_i32_i8 v202, v193, v53, 0
	s_waitcnt vmcnt(9)
	v_and_b32_e32 v42, 0xf0f0f0f, v87
	v_lshrrev_b32_e32 v197, 4, v87
	v_and_b32_e32 v87, 0xf0f0f0f, v45
	v_and_b32_e32 v45, 0xf0f0f0f, v196
	v_dot4_i32_i8 v196, v86, v54, 0
	v_cvt_f32_i32_e32 v202, v202
	v_and_b32_e32 v48, 0xf0f0f0f, v46
	v_cvt_f32_i32_e32 v196, v196
	v_dot4_i32_i8 v203, v87, v55, 0
	v_fma_f32 v39, v2, v39, -v3
	v_and_b32_e32 v43, 0xf0f0f0f, v197
	v_dot4_i32_i8 v197, v48, v56, 0
	v_cvt_f32_i32_e32 v203, v203
	s_waitcnt vmcnt(7)
	v_fma_mix_f32 v39, v39, v185, 0 op_sel_hi:[0,1,0]
	v_fma_f32 v201, v2, v201, -v3
	v_and_b32_e32 v46, 0xf0f0f0f, v47
	v_lshrrev_b32_e32 v47, 4, v47
	v_dot4_i32_i8 v204, v49, v57, 0
	v_cvt_f32_i32_e32 v197, v197
	v_fma_f32 v195, v4, v195, -v5
	v_fma_mix_f32 v39, v201, v185, v39 op_sel_hi:[0,1,0]
	v_and_b32_e32 v47, 0xf0f0f0f, v47
	v_dot4_i32_i8 v198, v46, v58, 0
	v_cvt_f32_i32_e32 v204, v204
	v_fma_f32 v202, v4, v202, -v5
	s_waitcnt vmcnt(6)
	v_fma_mix_f32 v39, v195, v186, v39 op_sel_hi:[0,1,0]
	v_dot4_i32_i8 v205, v47, v59, 0
	v_cvt_f32_i32_e32 v198, v198
	v_fma_f32 v196, v6, v196, -v7
	v_fma_mix_f32 v39, v202, v186, v39 op_sel_hi:[0,1,0]
	v_dot4_i32_i8 v199, v44, v60, 0
	v_cvt_f32_i32_e32 v205, v205
	v_fma_f32 v203, v6, v203, -v7
	s_waitcnt vmcnt(5)
	v_fma_mix_f32 v39, v196, v187, v39 op_sel_hi:[0,1,0]
	v_dot4_i32_i8 v206, v45, v61, 0
	v_cvt_f32_i32_e32 v199, v199
	v_fma_f32 v197, v8, v197, -v9
	v_fma_mix_f32 v39, v203, v187, v39 op_sel_hi:[0,1,0]
	v_dot4_i32_i8 v200, v42, v62, 0
	v_cvt_f32_i32_e32 v206, v206
	v_fma_f32 v204, v8, v204, -v9
	s_waitcnt vmcnt(4)
	v_fma_mix_f32 v39, v197, v188, v39 op_sel_hi:[0,1,0]
	v_and_b32_e32 v40, 0xf0f0f0f, v41
	v_lshrrev_b32_e32 v41, 4, v41
	v_dot4_i32_i8 v207, v43, v63, 0
	v_cvt_f32_i32_e32 v200, v200
	v_fma_f32 v198, v10, v198, -v11
	v_fma_mix_f32 v39, v204, v188, v39 op_sel_hi:[0,1,0]
	v_and_b32_e32 v41, 0xf0f0f0f, v41
	v_cvt_f32_i32_e32 v207, v207
	v_fma_f32 v205, v10, v205, -v11
	s_waitcnt vmcnt(3)
	v_fma_mix_f32 v39, v198, v189, v39 op_sel_hi:[0,1,0]
	v_dot4_i32_i8 v196, v40, v64, 0
	v_fma_f32 v199, v12, v199, -v13
	v_fma_mix_f32 v39, v205, v189, v39 op_sel_hi:[0,1,0]
	v_dot4_i32_i8 v197, v41, v65, 0
	v_cvt_f32_i32_e32 v196, v196
	v_fma_f32 v206, v12, v206, -v13
	s_waitcnt vmcnt(2)
	v_fma_mix_f32 v39, v199, v190, v39 op_sel_hi:[0,1,0]
	v_cvt_f32_i32_e32 v197, v197
	v_fma_mix_f32 v39, v206, v190, v39 op_sel_hi:[0,1,0]
	v_fma_f32 v195, v14, v200, -v15
	v_fma_f32 v207, v14, v207, -v15
	s_waitcnt vmcnt(1)
	v_fma_mix_f32 v39, v195, v191, v39 op_sel_hi:[0,1,0]
	v_fma_mix_f32 v39, v207, v191, v39 op_sel_hi:[0,1,0]
	v_fma_f32 v196, v16, v196, -v17
	v_fma_f32 v195, v16, v197, -v17
	s_waitcnt vmcnt(0)
	v_fma_mix_f32 v39, v196, v184, v39 op_sel_hi:[0,1,0]
	v_fma_mix_f32 v39, v195, v184, v39 op_sel_hi:[0,1,0]
	ds_bpermute_b32 v195, v98, v39
	v_cndmask_b32_e64 v196, 0, 1, s[34:35]
	v_cmp_ne_u32_e64 s[18:19], 1, v196
	s_waitcnt lgkmcnt(0)
	v_add_f32_e32 v39, v39, v195
	ds_bpermute_b32 v195, v99, v39
	s_waitcnt lgkmcnt(0)
	v_add_f32_e32 v39, v39, v195
	s_cbranch_vccnz .LBB28_27
; %bb.26:                               ;   in Loop: Header=BB28_21 Depth=1
	global_load_ushort v195, v38, s[30:31] offset:2
	s_waitcnt vmcnt(0)
	v_fma_mix_f32 v39, v92, v195, v39 op_sel_hi:[0,1,0]
.LBB28_27:                              ;   in Loop: Header=BB28_21 Depth=1
	v_dot4_i32_i8 v192, v192, v66, 0
	v_cvt_f32_i32_e32 v192, v192
	v_dot4_i32_i8 v194, v194, v67, 0
	v_cvt_f32_f16_e32 v185, v185
	v_cvt_f32_i32_e32 v194, v194
	v_dot4_i32_i8 v183, v183, v68, 0
	v_cvt_f32_i32_e32 v183, v183
	v_dot4_i32_i8 v193, v193, v69, 0
	v_cvt_f32_f16_e32 v186, v186
	v_cvt_f32_i32_e32 v193, v193
	v_dot4_i32_i8 v86, v86, v70, 0
	v_fma_f32 v192, v18, v192, -v19
	v_cvt_f32_i32_e32 v86, v86
	v_dot4_i32_i8 v87, v87, v71, 0
	v_cvt_f32_f16_e32 v187, v187
	v_fma_f32 v192, v192, v185, 0
	v_fma_f32 v194, v18, v194, -v19
	v_cvt_f32_i32_e32 v87, v87
	v_dot4_i32_i8 v48, v48, v72, 0
	v_fmac_f32_e32 v192, v194, v185
	v_fma_f32 v183, v20, v183, -v21
	v_cvt_f32_i32_e32 v48, v48
	v_dot4_i32_i8 v49, v49, v73, 0
	v_cvt_f32_f16_e32 v188, v188
	v_fmac_f32_e32 v192, v183, v186
	v_fma_f32 v183, v20, v193, -v21
	v_cvt_f32_i32_e32 v49, v49
	v_dot4_i32_i8 v46, v46, v74, 0
	v_fmac_f32_e32 v192, v183, v186
	v_fma_f32 v86, v22, v86, -v23
	v_cvt_f32_i32_e32 v46, v46
	v_dot4_i32_i8 v47, v47, v75, 0
	v_cvt_f32_f16_e32 v189, v189
	v_fmac_f32_e32 v192, v86, v187
	v_fma_f32 v86, v22, v87, -v23
	v_cvt_f32_i32_e32 v47, v47
	v_dot4_i32_i8 v44, v44, v76, 0
	v_fmac_f32_e32 v192, v86, v187
	v_fma_f32 v48, v24, v48, -v25
	v_cvt_f32_i32_e32 v44, v44
	v_dot4_i32_i8 v45, v45, v77, 0
	v_cvt_f32_f16_e32 v190, v190
	v_fmac_f32_e32 v192, v48, v188
	v_fma_f32 v48, v24, v49, -v25
	v_cvt_f32_i32_e32 v45, v45
	v_dot4_i32_i8 v42, v42, v78, 0
	v_fmac_f32_e32 v192, v48, v188
	v_fma_f32 v46, v26, v46, -v27
	v_cvt_f32_i32_e32 v42, v42
	v_dot4_i32_i8 v43, v43, v79, 0
	v_cvt_f32_f16_e32 v191, v191
	v_fmac_f32_e32 v192, v46, v189
	v_fma_f32 v46, v26, v47, -v27
	v_cvt_f32_i32_e32 v43, v43
	v_dot4_i32_i8 v40, v40, v80, 0
	v_fmac_f32_e32 v192, v46, v189
	v_fma_f32 v44, v28, v44, -v29
	v_cvt_f32_i32_e32 v40, v40
	v_dot4_i32_i8 v41, v41, v81, 0
	v_cvt_f32_f16_e32 v184, v184
	v_fmac_f32_e32 v192, v44, v190
	v_fma_f32 v44, v28, v45, -v29
	v_cvt_f32_i32_e32 v41, v41
	v_fmac_f32_e32 v192, v44, v190
	v_fma_f32 v42, v30, v42, -v31
	v_fmac_f32_e32 v192, v42, v191
	v_fma_f32 v42, v30, v43, -v31
	;; [unrolled: 2-line block ×4, first 2 shown]
	v_fmac_f32_e32 v192, v40, v184
	ds_bpermute_b32 v40, v98, v192
	s_and_b64 vcc, exec, s[16:17]
	s_waitcnt lgkmcnt(0)
	v_add_f32_e32 v40, v192, v40
	ds_bpermute_b32 v41, v99, v40
	s_waitcnt lgkmcnt(0)
	v_add_f32_e32 v40, v40, v41
	s_cbranch_vccnz .LBB28_29
; %bb.28:                               ;   in Loop: Header=BB28_21 Depth=1
	v_mov_b32_e32 v42, s31
	v_add_co_u32_e32 v41, vcc, s30, v84
	v_addc_co_u32_e32 v42, vcc, v42, v85, vcc
	global_load_ushort v41, v[41:42], off offset:2
	s_waitcnt vmcnt(0)
	v_fma_mix_f32 v40, v92, v41, v40 op_sel_hi:[0,1,0]
.LBB28_29:                              ;   in Loop: Header=BB28_21 Depth=1
	v_mov_b32_e32 v42, s39
	v_add_co_u32_e32 v41, vcc, s38, v104
	v_addc_co_u32_e32 v42, vcc, v42, v105, vcc
	v_add_co_u32_e32 v43, vcc, v41, v97
	v_addc_co_u32_e32 v44, vcc, 0, v42, vcc
	global_load_dword v45, v[43:44], off offset:2
	global_load_dword v46, v[43:44], off offset:20
	;; [unrolled: 1-line block ×7, first 2 shown]
	s_nop 0
	global_load_dword v43, v[43:44], off offset:128
	s_nop 0
	global_load_ushort v187, v[41:42], off
	global_load_ushort v188, v[41:42], off offset:18
	global_load_ushort v189, v[41:42], off offset:36
	;; [unrolled: 1-line block ×7, first 2 shown]
	s_and_b64 vcc, exec, s[18:19]
	s_waitcnt vmcnt(15)
	v_and_b32_e32 v194, 0xf0f0f0f, v45
	v_lshrrev_b32_e32 v41, 4, v45
	v_and_b32_e32 v196, 0xf0f0f0f, v41
	v_dot4_i32_i8 v41, v194, v50, 0
	s_waitcnt vmcnt(14)
	v_and_b32_e32 v185, 0xf0f0f0f, v46
	v_lshrrev_b32_e32 v45, 4, v46
	s_waitcnt vmcnt(12)
	v_lshrrev_b32_e32 v197, 4, v48
	v_cvt_f32_i32_e32 v41, v41
	v_dot4_i32_i8 v203, v196, v51, 0
	s_waitcnt vmcnt(10)
	v_and_b32_e32 v46, 0xf0f0f0f, v87
	v_lshrrev_b32_e32 v198, 4, v87
	v_and_b32_e32 v195, 0xf0f0f0f, v45
	v_and_b32_e32 v87, 0xf0f0f0f, v197
	v_dot4_i32_i8 v197, v185, v52, 0
	v_cvt_f32_i32_e32 v203, v203
	v_and_b32_e32 v183, 0xf0f0f0f, v47
	v_lshrrev_b32_e32 v47, 4, v47
	v_cvt_f32_i32_e32 v197, v197
	v_dot4_i32_i8 v204, v195, v53, 0
	s_waitcnt vmcnt(9)
	v_and_b32_e32 v44, 0xf0f0f0f, v184
	v_lshrrev_b32_e32 v199, 4, v184
	v_and_b32_e32 v184, 0xf0f0f0f, v47
	v_and_b32_e32 v47, 0xf0f0f0f, v198
	v_dot4_i32_i8 v198, v183, v54, 0
	v_cvt_f32_i32_e32 v204, v204
	v_and_b32_e32 v86, 0xf0f0f0f, v48
	v_cvt_f32_i32_e32 v198, v198
	v_dot4_i32_i8 v205, v184, v55, 0
	v_fma_f32 v41, v2, v41, -v3
	v_and_b32_e32 v45, 0xf0f0f0f, v199
	v_dot4_i32_i8 v199, v86, v56, 0
	v_cvt_f32_i32_e32 v205, v205
	s_waitcnt vmcnt(7)
	v_fma_mix_f32 v41, v41, v187, 0 op_sel_hi:[0,1,0]
	v_fma_f32 v203, v2, v203, -v3
	v_and_b32_e32 v48, 0xf0f0f0f, v49
	v_lshrrev_b32_e32 v49, 4, v49
	v_dot4_i32_i8 v206, v87, v57, 0
	v_cvt_f32_i32_e32 v199, v199
	v_fma_f32 v197, v4, v197, -v5
	v_fma_mix_f32 v41, v203, v187, v41 op_sel_hi:[0,1,0]
	v_and_b32_e32 v49, 0xf0f0f0f, v49
	v_dot4_i32_i8 v200, v48, v58, 0
	v_cvt_f32_i32_e32 v206, v206
	v_fma_f32 v204, v4, v204, -v5
	s_waitcnt vmcnt(6)
	v_fma_mix_f32 v41, v197, v188, v41 op_sel_hi:[0,1,0]
	v_dot4_i32_i8 v207, v49, v59, 0
	v_cvt_f32_i32_e32 v200, v200
	v_fma_f32 v198, v6, v198, -v7
	v_fma_mix_f32 v41, v204, v188, v41 op_sel_hi:[0,1,0]
	v_dot4_i32_i8 v201, v46, v60, 0
	v_cvt_f32_i32_e32 v207, v207
	v_fma_f32 v205, v6, v205, -v7
	s_waitcnt vmcnt(5)
	v_fma_mix_f32 v41, v198, v189, v41 op_sel_hi:[0,1,0]
	v_dot4_i32_i8 v208, v47, v61, 0
	v_cvt_f32_i32_e32 v201, v201
	v_fma_f32 v199, v8, v199, -v9
	v_fma_mix_f32 v41, v205, v189, v41 op_sel_hi:[0,1,0]
	v_dot4_i32_i8 v202, v44, v62, 0
	v_cvt_f32_i32_e32 v208, v208
	v_fma_f32 v206, v8, v206, -v9
	s_waitcnt vmcnt(4)
	v_fma_mix_f32 v41, v199, v190, v41 op_sel_hi:[0,1,0]
	v_and_b32_e32 v42, 0xf0f0f0f, v43
	v_lshrrev_b32_e32 v43, 4, v43
	v_dot4_i32_i8 v209, v45, v63, 0
	v_cvt_f32_i32_e32 v202, v202
	v_fma_f32 v200, v10, v200, -v11
	v_fma_mix_f32 v41, v206, v190, v41 op_sel_hi:[0,1,0]
	v_and_b32_e32 v43, 0xf0f0f0f, v43
	v_cvt_f32_i32_e32 v209, v209
	v_fma_f32 v207, v10, v207, -v11
	s_waitcnt vmcnt(3)
	v_fma_mix_f32 v41, v200, v191, v41 op_sel_hi:[0,1,0]
	v_dot4_i32_i8 v198, v42, v64, 0
	v_fma_f32 v201, v12, v201, -v13
	v_fma_mix_f32 v41, v207, v191, v41 op_sel_hi:[0,1,0]
	v_dot4_i32_i8 v199, v43, v65, 0
	v_cvt_f32_i32_e32 v198, v198
	v_fma_f32 v208, v12, v208, -v13
	s_waitcnt vmcnt(2)
	v_fma_mix_f32 v41, v201, v192, v41 op_sel_hi:[0,1,0]
	v_cvt_f32_i32_e32 v199, v199
	v_fma_mix_f32 v41, v208, v192, v41 op_sel_hi:[0,1,0]
	v_fma_f32 v197, v14, v202, -v15
	v_fma_f32 v209, v14, v209, -v15
	s_waitcnt vmcnt(1)
	v_fma_mix_f32 v41, v197, v193, v41 op_sel_hi:[0,1,0]
	v_fma_mix_f32 v41, v209, v193, v41 op_sel_hi:[0,1,0]
	v_fma_f32 v198, v16, v198, -v17
	v_fma_f32 v197, v16, v199, -v17
	s_waitcnt vmcnt(0)
	v_fma_mix_f32 v41, v198, v186, v41 op_sel_hi:[0,1,0]
	v_fma_mix_f32 v41, v197, v186, v41 op_sel_hi:[0,1,0]
	ds_bpermute_b32 v197, v98, v41
	s_waitcnt lgkmcnt(0)
	v_add_f32_e32 v41, v41, v197
	ds_bpermute_b32 v197, v99, v41
	s_waitcnt lgkmcnt(0)
	v_add_f32_e32 v41, v41, v197
	s_cbranch_vccnz .LBB28_31
; %bb.30:                               ;   in Loop: Header=BB28_21 Depth=1
	global_load_ushort v197, v38, s[30:31] offset:4
	s_waitcnt vmcnt(0)
	v_fma_mix_f32 v41, v92, v197, v41 op_sel_hi:[0,1,0]
.LBB28_31:                              ;   in Loop: Header=BB28_21 Depth=1
	v_dot4_i32_i8 v194, v194, v66, 0
	v_cvt_f32_i32_e32 v194, v194
	v_dot4_i32_i8 v196, v196, v67, 0
	v_cvt_f32_f16_e32 v187, v187
	v_cvt_f32_i32_e32 v196, v196
	v_dot4_i32_i8 v185, v185, v68, 0
	v_cvt_f32_i32_e32 v185, v185
	v_dot4_i32_i8 v195, v195, v69, 0
	v_cvt_f32_f16_e32 v188, v188
	v_cvt_f32_i32_e32 v195, v195
	v_dot4_i32_i8 v183, v183, v70, 0
	v_fma_f32 v194, v18, v194, -v19
	v_cvt_f32_i32_e32 v183, v183
	v_dot4_i32_i8 v184, v184, v71, 0
	v_cvt_f32_f16_e32 v189, v189
	v_fma_f32 v194, v194, v187, 0
	v_fma_f32 v196, v18, v196, -v19
	v_cvt_f32_i32_e32 v184, v184
	v_dot4_i32_i8 v86, v86, v72, 0
	v_fmac_f32_e32 v194, v196, v187
	v_fma_f32 v185, v20, v185, -v21
	v_cvt_f32_i32_e32 v86, v86
	v_dot4_i32_i8 v87, v87, v73, 0
	v_cvt_f32_f16_e32 v190, v190
	v_fmac_f32_e32 v194, v185, v188
	v_fma_f32 v185, v20, v195, -v21
	v_cvt_f32_i32_e32 v87, v87
	v_dot4_i32_i8 v48, v48, v74, 0
	v_fmac_f32_e32 v194, v185, v188
	v_fma_f32 v183, v22, v183, -v23
	v_cvt_f32_i32_e32 v48, v48
	v_dot4_i32_i8 v49, v49, v75, 0
	v_cvt_f32_f16_e32 v191, v191
	v_fmac_f32_e32 v194, v183, v189
	;; [unrolled: 9-line block ×5, first 2 shown]
	v_fma_f32 v46, v28, v47, -v29
	v_cvt_f32_i32_e32 v43, v43
	v_fmac_f32_e32 v194, v46, v192
	v_fma_f32 v44, v30, v44, -v31
	v_fmac_f32_e32 v194, v44, v193
	v_fma_f32 v44, v30, v45, -v31
	;; [unrolled: 2-line block ×4, first 2 shown]
	v_fmac_f32_e32 v194, v42, v186
	ds_bpermute_b32 v42, v98, v194
	s_and_b64 vcc, exec, s[16:17]
	s_waitcnt lgkmcnt(0)
	v_add_f32_e32 v42, v194, v42
	ds_bpermute_b32 v43, v99, v42
	s_waitcnt lgkmcnt(0)
	v_add_f32_e32 v42, v42, v43
	s_cbranch_vccnz .LBB28_33
; %bb.32:                               ;   in Loop: Header=BB28_21 Depth=1
	v_mov_b32_e32 v44, s31
	v_add_co_u32_e32 v43, vcc, s30, v84
	v_addc_co_u32_e32 v44, vcc, v44, v85, vcc
	global_load_ushort v43, v[43:44], off offset:4
	s_waitcnt vmcnt(0)
	v_fma_mix_f32 v42, v92, v43, v42 op_sel_hi:[0,1,0]
.LBB28_33:                              ;   in Loop: Header=BB28_21 Depth=1
	v_mov_b32_e32 v44, s39
	v_add_co_u32_e32 v43, vcc, s38, v106
	v_addc_co_u32_e32 v44, vcc, v44, v107, vcc
	v_add_co_u32_e32 v45, vcc, v43, v97
	v_addc_co_u32_e32 v46, vcc, 0, v44, vcc
	global_load_dword v47, v[45:46], off offset:2
	global_load_dword v48, v[45:46], off offset:20
	;; [unrolled: 1-line block ×7, first 2 shown]
	s_nop 0
	global_load_dword v45, v[45:46], off offset:128
	s_nop 0
	global_load_ushort v189, v[43:44], off
	global_load_ushort v190, v[43:44], off offset:18
	global_load_ushort v191, v[43:44], off offset:36
	;; [unrolled: 1-line block ×7, first 2 shown]
	s_and_b64 vcc, exec, s[18:19]
	s_waitcnt vmcnt(15)
	v_and_b32_e32 v196, 0xf0f0f0f, v47
	v_lshrrev_b32_e32 v43, 4, v47
	v_and_b32_e32 v198, 0xf0f0f0f, v43
	v_dot4_i32_i8 v43, v196, v50, 0
	s_waitcnt vmcnt(14)
	v_and_b32_e32 v187, 0xf0f0f0f, v48
	v_lshrrev_b32_e32 v47, 4, v48
	s_waitcnt vmcnt(12)
	v_lshrrev_b32_e32 v199, 4, v86
	v_cvt_f32_i32_e32 v43, v43
	v_dot4_i32_i8 v205, v198, v51, 0
	s_waitcnt vmcnt(10)
	v_and_b32_e32 v48, 0xf0f0f0f, v184
	v_lshrrev_b32_e32 v200, 4, v184
	v_and_b32_e32 v197, 0xf0f0f0f, v47
	v_and_b32_e32 v184, 0xf0f0f0f, v199
	v_dot4_i32_i8 v199, v187, v52, 0
	v_cvt_f32_i32_e32 v205, v205
	v_and_b32_e32 v185, 0xf0f0f0f, v49
	v_lshrrev_b32_e32 v49, 4, v49
	v_cvt_f32_i32_e32 v199, v199
	v_dot4_i32_i8 v206, v197, v53, 0
	s_waitcnt vmcnt(9)
	v_and_b32_e32 v46, 0xf0f0f0f, v186
	v_lshrrev_b32_e32 v201, 4, v186
	v_and_b32_e32 v186, 0xf0f0f0f, v49
	v_and_b32_e32 v49, 0xf0f0f0f, v200
	v_dot4_i32_i8 v200, v185, v54, 0
	v_cvt_f32_i32_e32 v206, v206
	v_and_b32_e32 v183, 0xf0f0f0f, v86
	v_cvt_f32_i32_e32 v200, v200
	v_dot4_i32_i8 v207, v186, v55, 0
	v_fma_f32 v43, v2, v43, -v3
	v_and_b32_e32 v47, 0xf0f0f0f, v201
	v_dot4_i32_i8 v201, v183, v56, 0
	v_cvt_f32_i32_e32 v207, v207
	s_waitcnt vmcnt(7)
	v_fma_mix_f32 v43, v43, v189, 0 op_sel_hi:[0,1,0]
	v_fma_f32 v205, v2, v205, -v3
	v_and_b32_e32 v86, 0xf0f0f0f, v87
	v_lshrrev_b32_e32 v87, 4, v87
	v_dot4_i32_i8 v208, v184, v57, 0
	v_cvt_f32_i32_e32 v201, v201
	v_fma_f32 v199, v4, v199, -v5
	v_fma_mix_f32 v43, v205, v189, v43 op_sel_hi:[0,1,0]
	v_and_b32_e32 v87, 0xf0f0f0f, v87
	v_dot4_i32_i8 v202, v86, v58, 0
	v_cvt_f32_i32_e32 v208, v208
	v_fma_f32 v206, v4, v206, -v5
	s_waitcnt vmcnt(6)
	v_fma_mix_f32 v43, v199, v190, v43 op_sel_hi:[0,1,0]
	v_dot4_i32_i8 v209, v87, v59, 0
	v_cvt_f32_i32_e32 v202, v202
	v_fma_f32 v200, v6, v200, -v7
	v_fma_mix_f32 v43, v206, v190, v43 op_sel_hi:[0,1,0]
	v_dot4_i32_i8 v203, v48, v60, 0
	v_cvt_f32_i32_e32 v209, v209
	v_fma_f32 v207, v6, v207, -v7
	s_waitcnt vmcnt(5)
	v_fma_mix_f32 v43, v200, v191, v43 op_sel_hi:[0,1,0]
	v_dot4_i32_i8 v210, v49, v61, 0
	v_cvt_f32_i32_e32 v203, v203
	v_fma_f32 v201, v8, v201, -v9
	v_fma_mix_f32 v43, v207, v191, v43 op_sel_hi:[0,1,0]
	v_dot4_i32_i8 v204, v46, v62, 0
	v_cvt_f32_i32_e32 v210, v210
	v_fma_f32 v208, v8, v208, -v9
	s_waitcnt vmcnt(4)
	v_fma_mix_f32 v43, v201, v192, v43 op_sel_hi:[0,1,0]
	v_and_b32_e32 v44, 0xf0f0f0f, v45
	v_lshrrev_b32_e32 v45, 4, v45
	v_dot4_i32_i8 v211, v47, v63, 0
	v_cvt_f32_i32_e32 v204, v204
	v_fma_f32 v202, v10, v202, -v11
	v_fma_mix_f32 v43, v208, v192, v43 op_sel_hi:[0,1,0]
	v_and_b32_e32 v45, 0xf0f0f0f, v45
	v_cvt_f32_i32_e32 v211, v211
	v_fma_f32 v209, v10, v209, -v11
	s_waitcnt vmcnt(3)
	v_fma_mix_f32 v43, v202, v193, v43 op_sel_hi:[0,1,0]
	v_dot4_i32_i8 v200, v44, v64, 0
	v_fma_f32 v203, v12, v203, -v13
	v_fma_mix_f32 v43, v209, v193, v43 op_sel_hi:[0,1,0]
	v_dot4_i32_i8 v201, v45, v65, 0
	v_cvt_f32_i32_e32 v200, v200
	v_fma_f32 v210, v12, v210, -v13
	s_waitcnt vmcnt(2)
	v_fma_mix_f32 v43, v203, v194, v43 op_sel_hi:[0,1,0]
	v_cvt_f32_i32_e32 v201, v201
	v_fma_mix_f32 v43, v210, v194, v43 op_sel_hi:[0,1,0]
	v_fma_f32 v199, v14, v204, -v15
	v_fma_f32 v211, v14, v211, -v15
	s_waitcnt vmcnt(1)
	v_fma_mix_f32 v43, v199, v195, v43 op_sel_hi:[0,1,0]
	v_fma_mix_f32 v43, v211, v195, v43 op_sel_hi:[0,1,0]
	v_fma_f32 v200, v16, v200, -v17
	v_fma_f32 v199, v16, v201, -v17
	s_waitcnt vmcnt(0)
	v_fma_mix_f32 v43, v200, v188, v43 op_sel_hi:[0,1,0]
	v_fma_mix_f32 v43, v199, v188, v43 op_sel_hi:[0,1,0]
	ds_bpermute_b32 v199, v98, v43
	s_waitcnt lgkmcnt(0)
	v_add_f32_e32 v43, v43, v199
	ds_bpermute_b32 v199, v99, v43
	s_waitcnt lgkmcnt(0)
	v_add_f32_e32 v43, v43, v199
	s_cbranch_vccnz .LBB28_35
; %bb.34:                               ;   in Loop: Header=BB28_21 Depth=1
	global_load_ushort v38, v38, s[30:31] offset:6
	s_waitcnt vmcnt(0)
	v_fma_mix_f32 v43, v92, v38, v43 op_sel_hi:[0,1,0]
.LBB28_35:                              ;   in Loop: Header=BB28_21 Depth=1
	v_cvt_f32_f16_e32 v38, v189
	v_cvt_f32_f16_e32 v189, v190
	;; [unrolled: 1-line block ×7, first 2 shown]
	v_dot4_i32_i8 v195, v196, v66, 0
	v_cvt_f32_i32_e32 v195, v195
	v_dot4_i32_i8 v196, v198, v67, 0
	v_cvt_f32_i32_e32 v196, v196
	;; [unrolled: 2-line block ×4, first 2 shown]
	v_dot4_i32_i8 v185, v185, v70, 0
	v_fma_f32 v195, v18, v195, -v19
	v_cvt_f32_i32_e32 v185, v185
	v_dot4_i32_i8 v186, v186, v71, 0
	v_fma_f32 v195, v195, v38, 0
	v_fma_f32 v196, v18, v196, -v19
	v_cvt_f32_i32_e32 v186, v186
	v_dot4_i32_i8 v183, v183, v72, 0
	v_fmac_f32_e32 v195, v196, v38
	v_fma_f32 v38, v20, v187, -v21
	v_cvt_f32_i32_e32 v183, v183
	v_dot4_i32_i8 v184, v184, v73, 0
	v_fmac_f32_e32 v195, v38, v189
	;; [unrolled: 4-line block ×9, first 2 shown]
	v_fma_f32 v38, v28, v48, -v29
	v_cvt_f32_i32_e32 v44, v44
	v_dot4_i32_i8 v45, v45, v81, 0
	v_cvt_f32_f16_e32 v188, v188
	v_fmac_f32_e32 v195, v38, v193
	v_fma_f32 v38, v28, v49, -v29
	v_cvt_f32_i32_e32 v45, v45
	v_fmac_f32_e32 v195, v38, v193
	v_fma_f32 v38, v30, v46, -v31
	v_fmac_f32_e32 v195, v38, v194
	v_fma_f32 v38, v30, v47, -v31
	;; [unrolled: 2-line block ×4, first 2 shown]
	v_fmac_f32_e32 v195, v38, v188
	ds_bpermute_b32 v38, v98, v195
	s_and_b64 vcc, exec, s[16:17]
	s_waitcnt lgkmcnt(0)
	v_add_f32_e32 v38, v195, v38
	ds_bpermute_b32 v44, v99, v38
	s_waitcnt lgkmcnt(0)
	v_add_f32_e32 v38, v38, v44
	s_cbranch_vccnz .LBB28_37
; %bb.36:                               ;   in Loop: Header=BB28_21 Depth=1
	v_mov_b32_e32 v45, s31
	v_add_co_u32_e32 v44, vcc, s30, v84
	v_addc_co_u32_e32 v45, vcc, v45, v85, vcc
	global_load_ushort v44, v[44:45], off offset:6
	s_waitcnt vmcnt(0)
	v_fma_mix_f32 v38, v92, v44, v38 op_sel_hi:[0,1,0]
.LBB28_37:                              ;   in Loop: Header=BB28_21 Depth=1
	buffer_load_dword v44, off, s[0:3], 0
	buffer_load_dword v45, off, s[0:3], 0 offset:4
	buffer_load_dword v46, off, s[0:3], 0 offset:8
	buffer_load_dword v185, off, s[0:3], 0 offset:12
	buffer_load_dword v196, off, s[0:3], 0 offset:16
	buffer_load_dword v198, off, s[0:3], 0 offset:24
	buffer_load_dword v197, off, s[0:3], 0 offset:20
	buffer_load_dword v199, off, s[0:3], 0 offset:28
	v_cndmask_b32_e64 v47, v181, v36, s[8:9]
	v_add_f32_e32 v36, 0x40051340, v36
	v_add_f32_e32 v49, 0x40051340, v39
	;; [unrolled: 1-line block ×4, first 2 shown]
	v_max3_f32 v36, v35, v36, v49
	v_cndmask_b32_e64 v48, v182, v37, s[8:9]
	v_max3_f32 v36, v36, v86, v87
	v_add_f32_e32 v181, 0x40051340, v40
	v_cndmask_b32_e64 v40, v48, v40, s[10:11]
	ds_bpermute_b32 v48, v108, v36
	v_add_f32_e32 v37, 0x40051340, v37
	v_add_f32_e32 v182, 0x40051340, v42
	;; [unrolled: 1-line block ×3, first 2 shown]
	v_max3_f32 v37, v34, v37, v181
	s_waitcnt lgkmcnt(0)
	v_max_f32_e32 v48, v48, v48
	v_max3_f32 v37, v37, v182, v183
	v_max_f32_e32 v36, v36, v48
	v_cndmask_b32_e64 v39, v47, v39, s[10:11]
	ds_bpermute_b32 v47, v108, v37
	ds_bpermute_b32 v48, v109, v36
	v_cndmask_b32_e64 v39, v39, v41, s[12:13]
	v_cndmask_b32_e64 v40, v40, v42, s[12:13]
	;; [unrolled: 1-line block ×3, first 2 shown]
	s_waitcnt lgkmcnt(1)
	v_max_f32_e32 v41, v47, v47
	s_waitcnt lgkmcnt(0)
	v_max_f32_e32 v47, v48, v48
	v_max_f32_e32 v37, v37, v41
	;; [unrolled: 1-line block ×3, first 2 shown]
	ds_bpermute_b32 v41, v109, v37
	ds_bpermute_b32 v47, v111, v36
	v_cndmask_b32_e64 v39, v39, v43, s[14:15]
	v_mov_b32_e32 v183, s27
	v_mul_u32_u24_e32 v186, 34, v114
	s_waitcnt lgkmcnt(1)
	v_max_f32_e32 v40, v41, v41
	s_waitcnt lgkmcnt(0)
	v_max_f32_e32 v41, v47, v47
	v_max_f32_e32 v86, v36, v41
	v_sub_f32_e32 v35, v35, v86
	v_sub_f32_e32 v36, v39, v86
	v_mul_f32_e32 v39, 0x3fb8aa3b, v35
	v_mul_f32_e32 v41, 0x3fb8aa3b, v36
	v_fma_f32 v42, v35, s42, -v39
	v_rndne_f32_e32 v43, v39
	v_fma_f32 v47, v36, s42, -v41
	v_rndne_f32_e32 v48, v41
	v_fmac_f32_e32 v42, 0x32a5705f, v35
	v_sub_f32_e32 v39, v39, v43
	v_fmac_f32_e32 v47, 0x32a5705f, v36
	v_sub_f32_e32 v41, v41, v48
	v_add_f32_e32 v39, v39, v42
	v_cvt_i32_f32_e32 v43, v43
	v_add_f32_e32 v41, v41, v47
	v_exp_f32_e32 v39, v39
	v_cvt_i32_f32_e32 v48, v48
	v_exp_f32_e32 v41, v41
	v_max_f32_e32 v37, v37, v40
	ds_bpermute_b32 v40, v111, v37
	v_ldexp_f32 v39, v39, v43
	v_cmp_ngt_f32_e32 vcc, s43, v35
	v_ldexp_f32 v41, v41, v48
	v_cndmask_b32_e32 v39, 0, v39, vcc
	v_cmp_ngt_f32_e32 vcc, s43, v36
	v_cndmask_b32_e32 v41, 0, v41, vcc
	v_cmp_nlt_f32_e32 vcc, s46, v35
	v_cndmask_b32_e32 v35, v180, v39, vcc
	v_cmp_nlt_f32_e32 vcc, s46, v36
	v_cndmask_b32_e32 v181, v180, v41, vcc
	v_cvt_f16_f32_e32 v36, v181
	v_cvt_f16_f32_e32 v39, v35
	s_waitcnt lgkmcnt(0)
	v_max_f32_e32 v40, v40, v40
	v_max_f32_e32 v87, v37, v40
	v_sub_f32_e32 v40, v34, v87
	v_mul_f32_e32 v34, 0x3fb8aa3b, v40
	v_fma_f32 v93, v93, v35, v181
	ds_write_b16 v91, v36
	v_mul_u32_u24_e32 v39, 0x10001, v39
	v_fma_f32 v35, v40, s42, -v34
	v_rndne_f32_e32 v36, v34
	s_waitcnt vmcnt(7)
	v_pk_mul_f16 v189, v44, v39
	v_fmac_f32_e32 v35, 0x32a5705f, v40
	v_sub_f32_e32 v34, v34, v36
	v_add_co_u32_e32 v44, vcc, s6, v110
	s_waitcnt vmcnt(6)
	v_pk_mul_f16 v188, v45, v39
	v_add_f32_e32 v34, v34, v35
	v_addc_co_u32_e32 v45, vcc, v183, v113, vcc
	v_exp_f32_e32 v42, v34
	v_mul_hi_u32_u24_e32 v184, 34, v114
	v_add_co_u32_e32 v34, vcc, v44, v186
	v_addc_co_u32_e32 v35, vcc, v45, v184, vcc
	buffer_store_dword v189, off, s[0:3], 0
	v_cvt_i32_f32_e32 v43, v36
	v_add_co_u32_e32 v36, vcc, v34, v115
	v_addc_co_u32_e32 v37, vcc, 0, v35, vcc
	global_load_ushort v191, v[34:35], off
	global_load_dword v190, v[36:37], off offset:2
	s_waitcnt vmcnt(7)
	v_pk_mul_f16 v34, v185, v39
	v_mul_u32_u24_e32 v187, 34, v116
	v_pk_mul_f16 v41, v46, v39
	buffer_store_dword v34, off, s[0:3], 0 offset:12
	v_sub_f32_e32 v38, v38, v87
	v_mul_hi_u32_u24_e32 v185, 34, v116
	v_add_co_u32_e32 v34, vcc, v44, v187
	buffer_store_dword v41, off, s[0:3], 0 offset:8
	v_mul_f32_e32 v41, 0x3fb8aa3b, v38
	v_addc_co_u32_e32 v35, vcc, v45, v185, vcc
	v_ldexp_f32 v39, v42, v43
	v_fma_f32 v42, v38, s42, -v41
	v_rndne_f32_e32 v43, v41
	v_add_co_u32_e32 v36, vcc, v34, v117
	v_fmac_f32_e32 v42, 0x32a5705f, v38
	v_addc_co_u32_e32 v37, vcc, 0, v35, vcc
	global_load_ushort v193, v[34:35], off
	global_load_dword v192, v[36:37], off offset:2
	v_sub_f32_e32 v34, v41, v43
	v_add_f32_e32 v34, v34, v42
	v_exp_f32_e32 v34, v34
	v_cvt_i32_f32_e32 v35, v43
	v_cmp_ngt_f32_e32 vcc, s43, v40
	v_cndmask_b32_e32 v36, 0, v39, vcc
	v_cmp_nlt_f32_e32 vcc, s46, v40
	v_cndmask_b32_e32 v36, v180, v36, vcc
	v_ldexp_f32 v34, v34, v35
	v_cmp_ngt_f32_e32 vcc, s43, v38
	v_cndmask_b32_e32 v34, 0, v34, vcc
	v_cmp_nlt_f32_e32 vcc, s46, v38
	v_cndmask_b32_e32 v182, v180, v34, vcc
	v_cvt_f16_f32_e32 v34, v182
	v_cvt_f16_f32_e32 v35, v36
	v_add_co_u32_e32 v200, vcc, s6, v118
	buffer_load_dword v194, off, s[0:3], 0 offset:8
	buffer_load_dword v195, off, s[0:3], 0 offset:12
	v_addc_co_u32_e32 v201, vcc, v183, v119, vcc
	ds_write_b16 v91, v34 offset:256
	v_add_co_u32_e32 v34, vcc, v200, v186
	v_mul_u32_u24_e32 v38, 0x10001, v35
	v_addc_co_u32_e32 v35, vcc, v201, v184, vcc
	buffer_store_dword v188, off, s[0:3], 0 offset:4
	v_fma_f32 v94, v94, v36, v182
	v_add_co_u32_e32 v36, vcc, v34, v115
	s_waitcnt vmcnt(13)
	v_pk_mul_f16 v202, v196, v38
	s_waitcnt vmcnt(11)
	v_pk_mul_f16 v203, v197, v38
	v_addc_co_u32_e32 v37, vcc, 0, v35, vcc
	global_load_ushort v197, v[34:35], off
	global_load_dword v196, v[36:37], off offset:2
	v_pk_mul_f16 v204, v198, v38
	v_add_co_u32_e32 v198, vcc, v200, v187
	s_waitcnt vmcnt(12)
	v_pk_mul_f16 v205, v199, v38
	v_addc_co_u32_e32 v199, vcc, v201, v185, vcc
	buffer_store_dword v204, off, s[0:3], 0 offset:24
	buffer_store_dword v205, off, s[0:3], 0 offset:28
	v_add_co_u32_e32 v200, vcc, v198, v117
	ds_read_b128 v[42:45], v112
	ds_read_b128 v[34:37], v112 offset:16
	ds_read_b128 v[46:49], v112 offset:256
	ds_read_b128 v[38:41], v112 offset:272
	v_addc_co_u32_e32 v201, vcc, 0, v199, vcc
	global_load_ushort v198, v[198:199], off
	s_nop 0
	global_load_dword v199, v[200:201], off offset:2
	s_waitcnt lgkmcnt(3)
	v_mul_u32_u24_sdwa v206, v42, s47 dst_sel:DWORD dst_unused:UNUSED_PAD src0_sel:WORD_0 src1_sel:DWORD
	s_waitcnt lgkmcnt(1)
	v_mul_u32_u24_sdwa v207, v46, s47 dst_sel:DWORD dst_unused:UNUSED_PAD src0_sel:WORD_0 src1_sel:DWORD
	v_mul_u32_u24_sdwa v42, v42, s47 dst_sel:DWORD dst_unused:UNUSED_PAD src0_sel:WORD_1 src1_sel:DWORD
	v_mul_u32_u24_sdwa v46, v46, s47 dst_sel:DWORD dst_unused:UNUSED_PAD src0_sel:WORD_1 src1_sel:DWORD
	s_waitcnt vmcnt(14)
	v_mul_u32_u24_e32 v191, 0x10001, v191
	s_waitcnt vmcnt(13)
	v_pk_lshrrev_b16 v200, 8, v190 op_sel:[1,0] op_sel_hi:[0,0]
	v_lshrrev_b32_e32 v201, 16, v200
	v_cvt_f16_i16_sdwa v200, sext(v200) dst_sel:DWORD dst_unused:UNUSED_PAD src0_sel:BYTE_0
	v_cvt_f16_i16_sdwa v201, sext(v201) dst_sel:DWORD dst_unused:UNUSED_PAD src0_sel:BYTE_0
	v_pk_lshrrev_b16 v190, 8, v190 op_sel:[1,1] op_sel_hi:[0,1]
	v_pack_b32_f16 v200, v200, v201
	v_lshrrev_b32_e32 v201, 16, v190
	v_cvt_f16_i16_sdwa v190, sext(v190) dst_sel:DWORD dst_unused:UNUSED_PAD src0_sel:BYTE_0
	v_cvt_f16_i16_sdwa v201, sext(v201) dst_sel:DWORD dst_unused:UNUSED_PAD src0_sel:BYTE_0
	v_pk_mul_f16 v200, v200, v191
	v_pack_b32_f16 v190, v190, v201
	v_pk_mul_f16 v190, v190, v191
	v_pk_fma_f16 v201, v200, v206, v189
	v_pk_fma_f16 v200, v200, v207, v202
	;; [unrolled: 1-line block ×4, first 2 shown]
	buffer_store_dword v201, off, s[0:3], 0
	buffer_store_dword v200, off, s[0:3], 0 offset:16
	buffer_store_dword v202, off, s[0:3], 0 offset:4
	buffer_store_dword v203, off, s[0:3], 0 offset:20
	s_waitcnt vmcnt(14)
	v_mul_u32_u24_e32 v188, 0x10001, v193
	s_waitcnt vmcnt(13)
	v_pk_lshrrev_b16 v189, 8, v192 op_sel:[1,0] op_sel_hi:[0,0]
	v_lshrrev_b32_e32 v190, 16, v189
	v_cvt_f16_i16_sdwa v189, sext(v189) dst_sel:DWORD dst_unused:UNUSED_PAD src0_sel:BYTE_0
	v_cvt_f16_i16_sdwa v190, sext(v190) dst_sel:DWORD dst_unused:UNUSED_PAD src0_sel:BYTE_0
	v_pack_b32_f16 v189, v189, v190
	v_pk_lshrrev_b16 v190, 8, v192 op_sel:[1,1] op_sel_hi:[0,1]
	v_lshrrev_b32_e32 v191, 16, v190
	v_cvt_f16_i16_sdwa v190, sext(v190) dst_sel:DWORD dst_unused:UNUSED_PAD src0_sel:BYTE_0
	v_cvt_f16_i16_sdwa v191, sext(v191) dst_sel:DWORD dst_unused:UNUSED_PAD src0_sel:BYTE_0
	v_pk_mul_f16 v189, v189, v188
	v_pack_b32_f16 v190, v190, v191
	v_pk_mul_f16 v188, v190, v188
	v_pk_fma_f16 v193, v189, v207, v204
	v_add_co_u32_e32 v204, vcc, s6, v120
	buffer_store_dword v193, off, s[0:3], 0 offset:24
	s_add_i32 s26, s28, s26
	s_add_u32 s38, s38, s40
	s_waitcnt vmcnt(13)
	v_pk_fma_f16 v192, v189, v206, v194
	s_waitcnt vmcnt(12)
	v_pk_fma_f16 v194, v188, v206, v195
	v_pk_fma_f16 v195, v188, v207, v205
	v_addc_co_u32_e32 v205, vcc, v183, v121, vcc
	v_add_co_u32_e32 v188, vcc, v204, v186
	v_addc_co_u32_e32 v189, vcc, v205, v184, vcc
	buffer_store_dword v192, off, s[0:3], 0 offset:8
	buffer_store_dword v194, off, s[0:3], 0 offset:12
	;; [unrolled: 1-line block ×3, first 2 shown]
	v_add_co_u32_e32 v190, vcc, v188, v115
	v_addc_co_u32_e32 v191, vcc, 0, v189, vcc
	global_load_ushort v206, v[188:189], off
	global_load_dword v207, v[190:191], off offset:2
	s_waitcnt vmcnt(15)
	v_mul_u32_u24_e32 v197, 0x10001, v197
	s_waitcnt vmcnt(14)
	v_pk_lshrrev_b16 v188, 8, v196 op_sel:[1,0] op_sel_hi:[0,0]
	v_lshrrev_b32_e32 v189, 16, v188
	v_cvt_f16_i16_sdwa v188, sext(v188) dst_sel:DWORD dst_unused:UNUSED_PAD src0_sel:BYTE_0
	v_cvt_f16_i16_sdwa v189, sext(v189) dst_sel:DWORD dst_unused:UNUSED_PAD src0_sel:BYTE_0
	v_pack_b32_f16 v188, v188, v189
	v_pk_mul_f16 v208, v188, v197
	v_pk_lshrrev_b16 v188, 8, v196 op_sel:[1,1] op_sel_hi:[0,1]
	v_lshrrev_b32_e32 v189, 16, v188
	v_cvt_f16_i16_sdwa v196, sext(v188) dst_sel:DWORD dst_unused:UNUSED_PAD src0_sel:BYTE_0
	v_add_co_u32_e32 v188, vcc, v204, v187
	v_cvt_f16_i16_sdwa v209, sext(v189) dst_sel:DWORD dst_unused:UNUSED_PAD src0_sel:BYTE_0
	v_addc_co_u32_e32 v189, vcc, v205, v185, vcc
	v_add_co_u32_e32 v190, vcc, v188, v117
	v_addc_co_u32_e32 v191, vcc, 0, v189, vcc
	global_load_ushort v204, v[188:189], off
	global_load_dword v205, v[190:191], off offset:2
	s_waitcnt vmcnt(12)
	v_pk_lshrrev_b16 v189, 8, v199 op_sel:[1,0] op_sel_hi:[0,0]
	v_pack_b32_f16 v188, v196, v209
	v_lshrrev_b32_e32 v190, 16, v189
	v_pk_mul_f16 v188, v188, v197
	v_cvt_f16_i16_sdwa v189, sext(v189) dst_sel:DWORD dst_unused:UNUSED_PAD src0_sel:BYTE_0
	v_cvt_f16_i16_sdwa v190, sext(v190) dst_sel:DWORD dst_unused:UNUSED_PAD src0_sel:BYTE_0
	v_pk_fma_f16 v196, v208, v42, v201
	v_pk_fma_f16 v197, v208, v46, v200
	;; [unrolled: 1-line block ×4, first 2 shown]
	v_mul_u32_u24_e32 v188, 0x10001, v198
	v_pack_b32_f16 v189, v189, v190
	v_pk_mul_f16 v198, v189, v188
	v_pk_lshrrev_b16 v189, 8, v199 op_sel:[1,1] op_sel_hi:[0,1]
	v_lshrrev_b32_e32 v190, 16, v189
	v_cvt_f16_i16_sdwa v189, sext(v189) dst_sel:DWORD dst_unused:UNUSED_PAD src0_sel:BYTE_0
	v_cvt_f16_i16_sdwa v190, sext(v190) dst_sel:DWORD dst_unused:UNUSED_PAD src0_sel:BYTE_0
	v_add_co_u32_e32 v202, vcc, s6, v122
	v_pack_b32_f16 v189, v189, v190
	v_addc_co_u32_e32 v203, vcc, v183, v123, vcc
	v_pk_mul_f16 v199, v189, v188
	v_add_co_u32_e32 v188, vcc, v202, v186
	v_addc_co_u32_e32 v189, vcc, v203, v184, vcc
	buffer_store_dword v196, off, s[0:3], 0
	buffer_store_dword v197, off, s[0:3], 0 offset:16
	buffer_store_dword v200, off, s[0:3], 0 offset:4
	buffer_store_dword v201, off, s[0:3], 0 offset:20
	v_add_co_u32_e32 v190, vcc, v188, v115
	v_addc_co_u32_e32 v191, vcc, 0, v189, vcc
	global_load_ushort v208, v[188:189], off
	global_load_dword v209, v[190:191], off offset:2
	v_add_co_u32_e32 v188, vcc, v202, v187
	v_pk_fma_f16 v192, v198, v42, v192
	v_pk_fma_f16 v193, v198, v46, v193
	;; [unrolled: 1-line block ×4, first 2 shown]
	v_addc_co_u32_e32 v189, vcc, v203, v185, vcc
	buffer_store_dword v192, off, s[0:3], 0 offset:8
	buffer_store_dword v193, off, s[0:3], 0 offset:24
	;; [unrolled: 1-line block ×4, first 2 shown]
	v_add_co_u32_e32 v190, vcc, v188, v117
	v_addc_co_u32_e32 v191, vcc, 0, v189, vcc
	global_load_ushort v188, v[188:189], off
	s_nop 0
	global_load_dword v189, v[190:191], off offset:2
	v_mul_u32_u24_sdwa v194, v43, s47 dst_sel:DWORD dst_unused:UNUSED_PAD src0_sel:WORD_0 src1_sel:DWORD
	v_mul_u32_u24_sdwa v195, v47, s47 dst_sel:DWORD dst_unused:UNUSED_PAD src0_sel:WORD_0 src1_sel:DWORD
	s_addc_u32 s39, s39, 0
	s_waitcnt vmcnt(15)
	v_mul_u32_u24_e32 v190, 0x10001, v206
	s_waitcnt vmcnt(14)
	v_pk_lshrrev_b16 v191, 8, v207 op_sel:[1,0] op_sel_hi:[0,0]
	v_lshrrev_b32_e32 v198, 16, v191
	v_cvt_f16_i16_sdwa v191, sext(v191) dst_sel:DWORD dst_unused:UNUSED_PAD src0_sel:BYTE_0
	v_cvt_f16_i16_sdwa v198, sext(v198) dst_sel:DWORD dst_unused:UNUSED_PAD src0_sel:BYTE_0
	v_pack_b32_f16 v191, v191, v198
	v_pk_lshrrev_b16 v198, 8, v207 op_sel:[1,1] op_sel_hi:[0,1]
	v_lshrrev_b32_e32 v199, 16, v198
	v_cvt_f16_i16_sdwa v198, sext(v198) dst_sel:DWORD dst_unused:UNUSED_PAD src0_sel:BYTE_0
	v_cvt_f16_i16_sdwa v199, sext(v199) dst_sel:DWORD dst_unused:UNUSED_PAD src0_sel:BYTE_0
	v_pack_b32_f16 v198, v198, v199
	v_pk_mul_f16 v191, v191, v190
	v_pk_mul_f16 v190, v198, v190
	v_pk_fma_f16 v196, v191, v194, v196
	v_pk_fma_f16 v191, v191, v195, v197
	;; [unrolled: 1-line block ×4, first 2 shown]
	buffer_store_dword v196, off, s[0:3], 0
	buffer_store_dword v191, off, s[0:3], 0 offset:16
	buffer_store_dword v197, off, s[0:3], 0 offset:4
	s_waitcnt vmcnt(16)
	v_mul_u32_u24_e32 v198, 0x10001, v204
	s_waitcnt vmcnt(15)
	v_pk_lshrrev_b16 v199, 8, v205 op_sel:[1,0] op_sel_hi:[0,0]
	v_lshrrev_b32_e32 v200, 16, v199
	v_cvt_f16_i16_sdwa v199, sext(v199) dst_sel:DWORD dst_unused:UNUSED_PAD src0_sel:BYTE_0
	v_cvt_f16_i16_sdwa v200, sext(v200) dst_sel:DWORD dst_unused:UNUSED_PAD src0_sel:BYTE_0
	v_pack_b32_f16 v199, v199, v200
	v_pk_lshrrev_b16 v200, 8, v205 op_sel:[1,1] op_sel_hi:[0,1]
	v_lshrrev_b32_e32 v201, 16, v200
	v_cvt_f16_i16_sdwa v200, sext(v200) dst_sel:DWORD dst_unused:UNUSED_PAD src0_sel:BYTE_0
	v_cvt_f16_i16_sdwa v201, sext(v201) dst_sel:DWORD dst_unused:UNUSED_PAD src0_sel:BYTE_0
	v_pack_b32_f16 v200, v200, v201
	v_pk_mul_f16 v199, v199, v198
	v_pk_mul_f16 v198, v200, v198
	v_add_co_u32_e32 v200, vcc, s6, v124
	v_addc_co_u32_e32 v201, vcc, v183, v125, vcc
	v_pk_fma_f16 v192, v199, v194, v192
	v_pk_fma_f16 v194, v198, v194, v42
	v_add_co_u32_e32 v42, vcc, v200, v186
	v_pk_fma_f16 v193, v199, v195, v193
	v_pk_fma_f16 v195, v198, v195, v46
	v_mul_u32_u24_sdwa v198, v43, s47 dst_sel:DWORD dst_unused:UNUSED_PAD src0_sel:WORD_1 src1_sel:DWORD
	v_addc_co_u32_e32 v43, vcc, v201, v184, vcc
	buffer_store_dword v190, off, s[0:3], 0 offset:20
	buffer_store_dword v192, off, s[0:3], 0 offset:8
	buffer_store_dword v193, off, s[0:3], 0 offset:24
	buffer_store_dword v194, off, s[0:3], 0 offset:12
	buffer_store_dword v195, off, s[0:3], 0 offset:28
	v_add_co_u32_e32 v46, vcc, v42, v115
	v_mul_u32_u24_sdwa v199, v47, s47 dst_sel:DWORD dst_unused:UNUSED_PAD src0_sel:WORD_1 src1_sel:DWORD
	v_addc_co_u32_e32 v47, vcc, 0, v43, vcc
	global_load_ushort v202, v[42:43], off
	global_load_dword v203, v[46:47], off offset:2
	s_waitcnt vmcnt(16)
	v_pk_lshrrev_b16 v42, 8, v209 op_sel:[1,0] op_sel_hi:[0,0]
	v_lshrrev_b32_e32 v43, 16, v42
	v_cvt_f16_i16_sdwa v42, sext(v42) dst_sel:DWORD dst_unused:UNUSED_PAD src0_sel:BYTE_0
	v_cvt_f16_i16_sdwa v43, sext(v43) dst_sel:DWORD dst_unused:UNUSED_PAD src0_sel:BYTE_0
	v_mul_u32_u24_e32 v204, 0x10001, v208
	v_pack_b32_f16 v42, v42, v43
	v_pk_mul_f16 v205, v42, v204
	v_pk_lshrrev_b16 v42, 8, v209 op_sel:[1,1] op_sel_hi:[0,1]
	v_lshrrev_b32_e32 v43, 16, v42
	v_cvt_f16_i16_sdwa v206, sext(v42) dst_sel:DWORD dst_unused:UNUSED_PAD src0_sel:BYTE_0
	v_add_co_u32_e32 v42, vcc, v200, v187
	v_cvt_f16_i16_sdwa v207, sext(v43) dst_sel:DWORD dst_unused:UNUSED_PAD src0_sel:BYTE_0
	v_addc_co_u32_e32 v43, vcc, v201, v185, vcc
	v_add_co_u32_e32 v46, vcc, v42, v117
	v_addc_co_u32_e32 v47, vcc, 0, v43, vcc
	global_load_ushort v200, v[42:43], off
	global_load_dword v201, v[46:47], off offset:2
	s_waitcnt vmcnt(12)
	v_pk_lshrrev_b16 v43, 8, v189 op_sel:[1,0] op_sel_hi:[0,0]
	v_pack_b32_f16 v42, v206, v207
	v_lshrrev_b32_e32 v46, 16, v43
	v_pk_mul_f16 v42, v42, v204
	v_cvt_f16_i16_sdwa v43, sext(v43) dst_sel:DWORD dst_unused:UNUSED_PAD src0_sel:BYTE_0
	v_cvt_f16_i16_sdwa v46, sext(v46) dst_sel:DWORD dst_unused:UNUSED_PAD src0_sel:BYTE_0
	v_pk_fma_f16 v197, v42, v198, v197
	v_pk_fma_f16 v190, v42, v199, v190
	v_mul_u32_u24_e32 v42, 0x10001, v188
	v_pack_b32_f16 v43, v43, v46
	v_pk_mul_f16 v188, v43, v42
	v_pk_lshrrev_b16 v43, 8, v189 op_sel:[1,1] op_sel_hi:[0,1]
	v_lshrrev_b32_e32 v46, 16, v43
	v_cvt_f16_i16_sdwa v43, sext(v43) dst_sel:DWORD dst_unused:UNUSED_PAD src0_sel:BYTE_0
	v_cvt_f16_i16_sdwa v46, sext(v46) dst_sel:DWORD dst_unused:UNUSED_PAD src0_sel:BYTE_0
	v_add_co_u32_e32 v204, vcc, s6, v126
	v_pk_fma_f16 v196, v205, v198, v196
	v_pk_fma_f16 v191, v205, v199, v191
	v_pack_b32_f16 v43, v43, v46
	v_addc_co_u32_e32 v205, vcc, v183, v127, vcc
	v_pk_mul_f16 v189, v43, v42
	v_add_co_u32_e32 v42, vcc, v204, v186
	v_addc_co_u32_e32 v43, vcc, v205, v184, vcc
	buffer_store_dword v196, off, s[0:3], 0
	buffer_store_dword v191, off, s[0:3], 0 offset:16
	buffer_store_dword v197, off, s[0:3], 0 offset:4
	;; [unrolled: 1-line block ×3, first 2 shown]
	v_add_co_u32_e32 v46, vcc, v42, v115
	v_addc_co_u32_e32 v47, vcc, 0, v43, vcc
	global_load_ushort v206, v[42:43], off
	global_load_dword v207, v[46:47], off offset:2
	v_add_co_u32_e32 v42, vcc, v204, v187
	v_pk_fma_f16 v192, v188, v198, v192
	v_pk_fma_f16 v188, v188, v199, v193
	;; [unrolled: 1-line block ×4, first 2 shown]
	v_addc_co_u32_e32 v43, vcc, v205, v185, vcc
	buffer_store_dword v192, off, s[0:3], 0 offset:8
	buffer_store_dword v188, off, s[0:3], 0 offset:24
	;; [unrolled: 1-line block ×4, first 2 shown]
	v_add_co_u32_e32 v46, vcc, v42, v117
	v_addc_co_u32_e32 v47, vcc, 0, v43, vcc
	global_load_ushort v198, v[42:43], off
	global_load_dword v199, v[46:47], off offset:2
	v_mul_u32_u24_sdwa v194, v44, s47 dst_sel:DWORD dst_unused:UNUSED_PAD src0_sel:WORD_0 src1_sel:DWORD
	v_mul_u32_u24_sdwa v195, v48, s47 dst_sel:DWORD dst_unused:UNUSED_PAD src0_sel:WORD_0 src1_sel:DWORD
	v_mul_u32_u24_sdwa v44, v44, s47 dst_sel:DWORD dst_unused:UNUSED_PAD src0_sel:WORD_1 src1_sel:DWORD
	v_mul_u32_u24_sdwa v48, v48, s47 dst_sel:DWORD dst_unused:UNUSED_PAD src0_sel:WORD_1 src1_sel:DWORD
	s_waitcnt vmcnt(15)
	v_mul_u32_u24_e32 v42, 0x10001, v202
	s_waitcnt vmcnt(14)
	v_pk_lshrrev_b16 v43, 8, v203 op_sel:[1,0] op_sel_hi:[0,0]
	v_lshrrev_b32_e32 v46, 16, v43
	v_cvt_f16_i16_sdwa v43, sext(v43) dst_sel:DWORD dst_unused:UNUSED_PAD src0_sel:BYTE_0
	v_cvt_f16_i16_sdwa v46, sext(v46) dst_sel:DWORD dst_unused:UNUSED_PAD src0_sel:BYTE_0
	v_pack_b32_f16 v43, v43, v46
	v_pk_lshrrev_b16 v46, 8, v203 op_sel:[1,1] op_sel_hi:[0,1]
	v_lshrrev_b32_e32 v47, 16, v46
	v_pk_mul_f16 v43, v43, v42
	v_cvt_f16_i16_sdwa v46, sext(v46) dst_sel:DWORD dst_unused:UNUSED_PAD src0_sel:BYTE_0
	v_cvt_f16_i16_sdwa v47, sext(v47) dst_sel:DWORD dst_unused:UNUSED_PAD src0_sel:BYTE_0
	v_pack_b32_f16 v46, v46, v47
	v_pk_fma_f16 v196, v43, v194, v196
	v_pk_fma_f16 v191, v43, v195, v191
	v_pk_mul_f16 v42, v46, v42
	v_pk_fma_f16 v197, v42, v194, v197
	v_pk_fma_f16 v190, v42, v195, v190
	buffer_store_dword v196, off, s[0:3], 0
	buffer_store_dword v191, off, s[0:3], 0 offset:16
	buffer_store_dword v197, off, s[0:3], 0 offset:4
	s_waitcnt vmcnt(16)
	v_mul_u32_u24_e32 v42, 0x10001, v200
	s_waitcnt vmcnt(15)
	v_pk_lshrrev_b16 v43, 8, v201 op_sel:[1,0] op_sel_hi:[0,0]
	v_lshrrev_b32_e32 v46, 16, v43
	v_cvt_f16_i16_sdwa v43, sext(v43) dst_sel:DWORD dst_unused:UNUSED_PAD src0_sel:BYTE_0
	v_cvt_f16_i16_sdwa v46, sext(v46) dst_sel:DWORD dst_unused:UNUSED_PAD src0_sel:BYTE_0
	v_pack_b32_f16 v43, v43, v46
	v_pk_lshrrev_b16 v46, 8, v201 op_sel:[1,1] op_sel_hi:[0,1]
	v_lshrrev_b32_e32 v47, 16, v46
	v_cvt_f16_i16_sdwa v46, sext(v46) dst_sel:DWORD dst_unused:UNUSED_PAD src0_sel:BYTE_0
	v_cvt_f16_i16_sdwa v47, sext(v47) dst_sel:DWORD dst_unused:UNUSED_PAD src0_sel:BYTE_0
	v_pack_b32_f16 v46, v46, v47
	v_pk_mul_f16 v43, v43, v42
	v_pk_mul_f16 v42, v46, v42
	v_pk_fma_f16 v192, v43, v194, v192
	v_pk_fma_f16 v193, v42, v194, v193
	v_add_co_u32_e32 v194, vcc, s6, v128
	v_pk_fma_f16 v188, v43, v195, v188
	v_pk_fma_f16 v189, v42, v195, v189
	v_addc_co_u32_e32 v195, vcc, v183, v129, vcc
	v_add_co_u32_e32 v42, vcc, v194, v186
	v_addc_co_u32_e32 v43, vcc, v195, v184, vcc
	buffer_store_dword v190, off, s[0:3], 0 offset:20
	buffer_store_dword v192, off, s[0:3], 0 offset:8
	;; [unrolled: 1-line block ×5, first 2 shown]
	v_add_co_u32_e32 v46, vcc, v42, v115
	v_addc_co_u32_e32 v47, vcc, 0, v43, vcc
	global_load_ushort v200, v[42:43], off
	global_load_dword v201, v[46:47], off offset:2
	s_waitcnt vmcnt(17)
	v_mul_u32_u24_e32 v202, 0x10001, v206
	s_waitcnt vmcnt(16)
	v_pk_lshrrev_b16 v42, 8, v207 op_sel:[1,0] op_sel_hi:[0,0]
	v_lshrrev_b32_e32 v43, 16, v42
	v_cvt_f16_i16_sdwa v42, sext(v42) dst_sel:DWORD dst_unused:UNUSED_PAD src0_sel:BYTE_0
	v_cvt_f16_i16_sdwa v43, sext(v43) dst_sel:DWORD dst_unused:UNUSED_PAD src0_sel:BYTE_0
	v_pack_b32_f16 v42, v42, v43
	v_pk_mul_f16 v203, v42, v202
	v_pk_lshrrev_b16 v42, 8, v207 op_sel:[1,1] op_sel_hi:[0,1]
	v_lshrrev_b32_e32 v43, 16, v42
	v_cvt_f16_i16_sdwa v204, sext(v42) dst_sel:DWORD dst_unused:UNUSED_PAD src0_sel:BYTE_0
	v_add_co_u32_e32 v42, vcc, v194, v187
	v_cvt_f16_i16_sdwa v205, sext(v43) dst_sel:DWORD dst_unused:UNUSED_PAD src0_sel:BYTE_0
	v_addc_co_u32_e32 v43, vcc, v195, v185, vcc
	v_add_co_u32_e32 v46, vcc, v42, v117
	v_addc_co_u32_e32 v47, vcc, 0, v43, vcc
	global_load_ushort v194, v[42:43], off
	global_load_dword v195, v[46:47], off offset:2
	s_waitcnt vmcnt(12)
	v_pk_lshrrev_b16 v43, 8, v199 op_sel:[1,0] op_sel_hi:[0,0]
	v_pack_b32_f16 v42, v204, v205
	v_lshrrev_b32_e32 v46, 16, v43
	v_pk_mul_f16 v42, v42, v202
	v_cvt_f16_i16_sdwa v43, sext(v43) dst_sel:DWORD dst_unused:UNUSED_PAD src0_sel:BYTE_0
	v_cvt_f16_i16_sdwa v46, sext(v46) dst_sel:DWORD dst_unused:UNUSED_PAD src0_sel:BYTE_0
	v_pk_fma_f16 v197, v42, v44, v197
	v_pk_fma_f16 v190, v42, v48, v190
	v_mul_u32_u24_e32 v42, 0x10001, v198
	v_pack_b32_f16 v43, v43, v46
	v_pk_mul_f16 v198, v43, v42
	v_pk_lshrrev_b16 v43, 8, v199 op_sel:[1,1] op_sel_hi:[0,1]
	v_lshrrev_b32_e32 v46, 16, v43
	v_cvt_f16_i16_sdwa v43, sext(v43) dst_sel:DWORD dst_unused:UNUSED_PAD src0_sel:BYTE_0
	v_cvt_f16_i16_sdwa v46, sext(v46) dst_sel:DWORD dst_unused:UNUSED_PAD src0_sel:BYTE_0
	v_add_co_u32_e32 v202, vcc, s6, v130
	v_pk_fma_f16 v196, v203, v44, v196
	v_pk_fma_f16 v191, v203, v48, v191
	v_pack_b32_f16 v43, v43, v46
	v_addc_co_u32_e32 v203, vcc, v183, v131, vcc
	v_pk_mul_f16 v199, v43, v42
	v_add_co_u32_e32 v42, vcc, v202, v186
	v_addc_co_u32_e32 v43, vcc, v203, v184, vcc
	buffer_store_dword v196, off, s[0:3], 0
	buffer_store_dword v191, off, s[0:3], 0 offset:16
	buffer_store_dword v197, off, s[0:3], 0 offset:4
	buffer_store_dword v190, off, s[0:3], 0 offset:20
	v_add_co_u32_e32 v46, vcc, v42, v115
	v_addc_co_u32_e32 v47, vcc, 0, v43, vcc
	global_load_ushort v204, v[42:43], off
	global_load_dword v205, v[46:47], off offset:2
	v_add_co_u32_e32 v42, vcc, v202, v187
	v_pk_fma_f16 v192, v198, v44, v192
	v_pk_fma_f16 v188, v198, v48, v188
	;; [unrolled: 1-line block ×4, first 2 shown]
	v_addc_co_u32_e32 v43, vcc, v203, v185, vcc
	buffer_store_dword v192, off, s[0:3], 0 offset:8
	buffer_store_dword v188, off, s[0:3], 0 offset:24
	;; [unrolled: 1-line block ×4, first 2 shown]
	v_add_co_u32_e32 v46, vcc, v42, v117
	v_addc_co_u32_e32 v47, vcc, 0, v43, vcc
	global_load_ushort v198, v[42:43], off
	s_nop 0
	global_load_dword v46, v[46:47], off offset:2
	v_mul_u32_u24_sdwa v189, v45, s47 dst_sel:DWORD dst_unused:UNUSED_PAD src0_sel:WORD_0 src1_sel:DWORD
	v_mul_u32_u24_sdwa v193, v49, s47 dst_sel:DWORD dst_unused:UNUSED_PAD src0_sel:WORD_0 src1_sel:DWORD
	v_mul_u32_u24_sdwa v49, v49, s47 dst_sel:DWORD dst_unused:UNUSED_PAD src0_sel:WORD_1 src1_sel:DWORD
	s_waitcnt vmcnt(15)
	v_mul_u32_u24_e32 v42, 0x10001, v200
	s_waitcnt vmcnt(14)
	v_pk_lshrrev_b16 v43, 8, v201 op_sel:[1,0] op_sel_hi:[0,0]
	v_lshrrev_b32_e32 v47, 16, v43
	v_cvt_f16_i16_sdwa v43, sext(v43) dst_sel:DWORD dst_unused:UNUSED_PAD src0_sel:BYTE_0
	v_cvt_f16_i16_sdwa v47, sext(v47) dst_sel:DWORD dst_unused:UNUSED_PAD src0_sel:BYTE_0
	v_pack_b32_f16 v43, v43, v47
	v_pk_lshrrev_b16 v47, 8, v201 op_sel:[1,1] op_sel_hi:[0,1]
	v_lshrrev_b32_e32 v199, 16, v47
	v_cvt_f16_i16_sdwa v47, sext(v47) dst_sel:DWORD dst_unused:UNUSED_PAD src0_sel:BYTE_0
	v_cvt_f16_i16_sdwa v199, sext(v199) dst_sel:DWORD dst_unused:UNUSED_PAD src0_sel:BYTE_0
	v_pk_mul_f16 v43, v43, v42
	v_pack_b32_f16 v47, v47, v199
	v_pk_mul_f16 v42, v47, v42
	v_pk_fma_f16 v47, v43, v189, v196
	v_pk_fma_f16 v191, v43, v193, v191
	;; [unrolled: 1-line block ×4, first 2 shown]
	buffer_store_dword v47, off, s[0:3], 0
	buffer_store_dword v191, off, s[0:3], 0 offset:16
	buffer_store_dword v196, off, s[0:3], 0 offset:4
	;; [unrolled: 1-line block ×3, first 2 shown]
	s_waitcnt vmcnt(17)
	v_mul_u32_u24_e32 v42, 0x10001, v194
	s_waitcnt vmcnt(16)
	v_pk_lshrrev_b16 v43, 8, v195 op_sel:[1,0] op_sel_hi:[0,0]
	v_lshrrev_b32_e32 v194, 16, v43
	v_cvt_f16_i16_sdwa v43, sext(v43) dst_sel:DWORD dst_unused:UNUSED_PAD src0_sel:BYTE_0
	v_cvt_f16_i16_sdwa v194, sext(v194) dst_sel:DWORD dst_unused:UNUSED_PAD src0_sel:BYTE_0
	v_pack_b32_f16 v43, v43, v194
	v_pk_lshrrev_b16 v194, 8, v195 op_sel:[1,1] op_sel_hi:[0,1]
	v_lshrrev_b32_e32 v195, 16, v194
	v_cvt_f16_i16_sdwa v194, sext(v194) dst_sel:DWORD dst_unused:UNUSED_PAD src0_sel:BYTE_0
	v_cvt_f16_i16_sdwa v195, sext(v195) dst_sel:DWORD dst_unused:UNUSED_PAD src0_sel:BYTE_0
	v_pack_b32_f16 v194, v194, v195
	v_pk_mul_f16 v43, v43, v42
	v_pk_mul_f16 v42, v194, v42
	v_add_co_u32_e32 v194, vcc, s6, v132
	v_addc_co_u32_e32 v195, vcc, v183, v133, vcc
	v_pk_fma_f16 v192, v43, v189, v192
	v_pk_fma_f16 v189, v42, v189, v44
	v_pk_fma_f16 v48, v42, v193, v48
	v_add_co_u32_e32 v42, vcc, v194, v186
	v_pk_fma_f16 v188, v43, v193, v188
	v_addc_co_u32_e32 v43, vcc, v195, v184, vcc
	buffer_store_dword v192, off, s[0:3], 0 offset:8
	buffer_store_dword v188, off, s[0:3], 0 offset:24
	;; [unrolled: 1-line block ×4, first 2 shown]
	v_add_co_u32_e32 v44, vcc, v42, v115
	v_mul_u32_u24_sdwa v193, v45, s47 dst_sel:DWORD dst_unused:UNUSED_PAD src0_sel:WORD_1 src1_sel:DWORD
	v_addc_co_u32_e32 v45, vcc, 0, v43, vcc
	global_load_ushort v197, v[42:43], off
	global_load_dword v199, v[44:45], off offset:2
	s_waitcnt vmcnt(17)
	v_mul_u32_u24_e32 v200, 0x10001, v204
	s_waitcnt vmcnt(16)
	v_pk_lshrrev_b16 v42, 8, v205 op_sel:[1,0] op_sel_hi:[0,0]
	v_lshrrev_b32_e32 v43, 16, v42
	v_cvt_f16_i16_sdwa v42, sext(v42) dst_sel:DWORD dst_unused:UNUSED_PAD src0_sel:BYTE_0
	v_cvt_f16_i16_sdwa v43, sext(v43) dst_sel:DWORD dst_unused:UNUSED_PAD src0_sel:BYTE_0
	v_pack_b32_f16 v42, v42, v43
	v_pk_mul_f16 v201, v42, v200
	v_pk_lshrrev_b16 v42, 8, v205 op_sel:[1,1] op_sel_hi:[0,1]
	v_lshrrev_b32_e32 v43, 16, v42
	v_cvt_f16_i16_sdwa v202, sext(v42) dst_sel:DWORD dst_unused:UNUSED_PAD src0_sel:BYTE_0
	v_add_co_u32_e32 v42, vcc, v194, v187
	v_cvt_f16_i16_sdwa v203, sext(v43) dst_sel:DWORD dst_unused:UNUSED_PAD src0_sel:BYTE_0
	v_addc_co_u32_e32 v43, vcc, v195, v185, vcc
	v_add_co_u32_e32 v44, vcc, v42, v117
	v_addc_co_u32_e32 v45, vcc, 0, v43, vcc
	global_load_ushort v194, v[42:43], off
	global_load_dword v195, v[44:45], off offset:2
	s_waitcnt vmcnt(12)
	v_pk_lshrrev_b16 v43, 8, v46 op_sel:[1,0] op_sel_hi:[0,0]
	v_pack_b32_f16 v42, v202, v203
	v_lshrrev_b32_e32 v44, 16, v43
	v_pk_mul_f16 v42, v42, v200
	v_cvt_f16_i16_sdwa v43, sext(v43) dst_sel:DWORD dst_unused:UNUSED_PAD src0_sel:BYTE_0
	v_cvt_f16_i16_sdwa v44, sext(v44) dst_sel:DWORD dst_unused:UNUSED_PAD src0_sel:BYTE_0
	v_pk_fma_f16 v196, v42, v193, v196
	v_pk_fma_f16 v190, v42, v49, v190
	v_mul_u32_u24_e32 v42, 0x10001, v198
	v_pack_b32_f16 v43, v43, v44
	v_pk_mul_f16 v198, v43, v42
	v_pk_lshrrev_b16 v43, 8, v46 op_sel:[1,1] op_sel_hi:[0,1]
	v_lshrrev_b32_e32 v44, 16, v43
	v_cvt_f16_i16_sdwa v43, sext(v43) dst_sel:DWORD dst_unused:UNUSED_PAD src0_sel:BYTE_0
	v_cvt_f16_i16_sdwa v44, sext(v44) dst_sel:DWORD dst_unused:UNUSED_PAD src0_sel:BYTE_0
	v_add_co_u32_e32 v200, vcc, s6, v134
	v_pk_fma_f16 v47, v201, v193, v47
	v_pk_fma_f16 v191, v201, v49, v191
	v_pack_b32_f16 v43, v43, v44
	v_addc_co_u32_e32 v201, vcc, v183, v135, vcc
	v_pk_mul_f16 v46, v43, v42
	v_add_co_u32_e32 v42, vcc, v200, v186
	v_addc_co_u32_e32 v43, vcc, v201, v184, vcc
	buffer_store_dword v47, off, s[0:3], 0
	buffer_store_dword v191, off, s[0:3], 0 offset:16
	buffer_store_dword v196, off, s[0:3], 0 offset:4
	;; [unrolled: 1-line block ×3, first 2 shown]
	v_add_co_u32_e32 v44, vcc, v42, v115
	v_addc_co_u32_e32 v45, vcc, 0, v43, vcc
	global_load_ushort v202, v[42:43], off
	global_load_dword v203, v[44:45], off offset:2
	v_add_co_u32_e32 v42, vcc, v200, v187
	v_pk_fma_f16 v192, v198, v193, v192
	v_pk_fma_f16 v188, v198, v49, v188
	;; [unrolled: 1-line block ×4, first 2 shown]
	v_addc_co_u32_e32 v43, vcc, v201, v185, vcc
	buffer_store_dword v192, off, s[0:3], 0 offset:8
	buffer_store_dword v188, off, s[0:3], 0 offset:24
	;; [unrolled: 1-line block ×4, first 2 shown]
	v_add_co_u32_e32 v44, vcc, v42, v117
	v_addc_co_u32_e32 v45, vcc, 0, v43, vcc
	global_load_ushort v193, v[42:43], off
	global_load_dword v198, v[44:45], off offset:2
	v_mul_u32_u24_sdwa v48, v34, s47 dst_sel:DWORD dst_unused:UNUSED_PAD src0_sel:WORD_0 src1_sel:DWORD
	s_waitcnt lgkmcnt(0)
	v_mul_u32_u24_sdwa v49, v38, s47 dst_sel:DWORD dst_unused:UNUSED_PAD src0_sel:WORD_0 src1_sel:DWORD
	v_mul_u32_u24_sdwa v34, v34, s47 dst_sel:DWORD dst_unused:UNUSED_PAD src0_sel:WORD_1 src1_sel:DWORD
	v_mul_u32_u24_sdwa v38, v38, s47 dst_sel:DWORD dst_unused:UNUSED_PAD src0_sel:WORD_1 src1_sel:DWORD
	s_waitcnt vmcnt(15)
	v_mul_u32_u24_e32 v42, 0x10001, v197
	s_waitcnt vmcnt(14)
	v_pk_lshrrev_b16 v43, 8, v199 op_sel:[1,0] op_sel_hi:[0,0]
	v_lshrrev_b32_e32 v44, 16, v43
	v_cvt_f16_i16_sdwa v43, sext(v43) dst_sel:DWORD dst_unused:UNUSED_PAD src0_sel:BYTE_0
	v_cvt_f16_i16_sdwa v44, sext(v44) dst_sel:DWORD dst_unused:UNUSED_PAD src0_sel:BYTE_0
	v_pack_b32_f16 v43, v43, v44
	v_pk_lshrrev_b16 v44, 8, v199 op_sel:[1,1] op_sel_hi:[0,1]
	v_lshrrev_b32_e32 v45, 16, v44
	v_pk_mul_f16 v43, v43, v42
	v_cvt_f16_i16_sdwa v44, sext(v44) dst_sel:DWORD dst_unused:UNUSED_PAD src0_sel:BYTE_0
	v_cvt_f16_i16_sdwa v45, sext(v45) dst_sel:DWORD dst_unused:UNUSED_PAD src0_sel:BYTE_0
	v_pack_b32_f16 v44, v44, v45
	v_pk_fma_f16 v47, v43, v48, v47
	v_pk_fma_f16 v191, v43, v49, v191
	v_pk_mul_f16 v42, v44, v42
	v_pk_fma_f16 v196, v42, v48, v196
	v_pk_fma_f16 v190, v42, v49, v190
	buffer_store_dword v47, off, s[0:3], 0
	buffer_store_dword v191, off, s[0:3], 0 offset:16
	buffer_store_dword v196, off, s[0:3], 0 offset:4
	;; [unrolled: 1-line block ×3, first 2 shown]
	s_waitcnt vmcnt(17)
	v_mul_u32_u24_e32 v42, 0x10001, v194
	s_waitcnt vmcnt(16)
	v_pk_lshrrev_b16 v43, 8, v195 op_sel:[1,0] op_sel_hi:[0,0]
	v_lshrrev_b32_e32 v44, 16, v43
	v_cvt_f16_i16_sdwa v43, sext(v43) dst_sel:DWORD dst_unused:UNUSED_PAD src0_sel:BYTE_0
	v_cvt_f16_i16_sdwa v44, sext(v44) dst_sel:DWORD dst_unused:UNUSED_PAD src0_sel:BYTE_0
	v_pack_b32_f16 v43, v43, v44
	v_pk_lshrrev_b16 v44, 8, v195 op_sel:[1,1] op_sel_hi:[0,1]
	v_lshrrev_b32_e32 v45, 16, v44
	v_cvt_f16_i16_sdwa v44, sext(v44) dst_sel:DWORD dst_unused:UNUSED_PAD src0_sel:BYTE_0
	v_cvt_f16_i16_sdwa v45, sext(v45) dst_sel:DWORD dst_unused:UNUSED_PAD src0_sel:BYTE_0
	v_pack_b32_f16 v44, v44, v45
	v_pk_mul_f16 v43, v43, v42
	v_pk_mul_f16 v42, v44, v42
	v_pk_fma_f16 v188, v43, v49, v188
	v_pk_fma_f16 v46, v42, v49, v46
	v_add_co_u32_e32 v49, vcc, s6, v136
	v_pk_fma_f16 v192, v43, v48, v192
	v_pk_fma_f16 v48, v42, v48, v189
	v_addc_co_u32_e32 v189, vcc, v183, v137, vcc
	v_add_co_u32_e32 v42, vcc, v49, v186
	v_addc_co_u32_e32 v43, vcc, v189, v184, vcc
	buffer_store_dword v192, off, s[0:3], 0 offset:8
	buffer_store_dword v188, off, s[0:3], 0 offset:24
	;; [unrolled: 1-line block ×4, first 2 shown]
	v_add_co_u32_e32 v44, vcc, v42, v115
	v_addc_co_u32_e32 v45, vcc, 0, v43, vcc
	global_load_ushort v194, v[42:43], off
	global_load_dword v195, v[44:45], off offset:2
	s_waitcnt vmcnt(17)
	v_mul_u32_u24_e32 v197, 0x10001, v202
	s_waitcnt vmcnt(16)
	v_pk_lshrrev_b16 v42, 8, v203 op_sel:[1,0] op_sel_hi:[0,0]
	v_lshrrev_b32_e32 v43, 16, v42
	v_cvt_f16_i16_sdwa v42, sext(v42) dst_sel:DWORD dst_unused:UNUSED_PAD src0_sel:BYTE_0
	v_cvt_f16_i16_sdwa v43, sext(v43) dst_sel:DWORD dst_unused:UNUSED_PAD src0_sel:BYTE_0
	v_pack_b32_f16 v42, v42, v43
	v_pk_mul_f16 v199, v42, v197
	v_pk_lshrrev_b16 v42, 8, v203 op_sel:[1,1] op_sel_hi:[0,1]
	v_lshrrev_b32_e32 v43, 16, v42
	v_cvt_f16_i16_sdwa v200, sext(v42) dst_sel:DWORD dst_unused:UNUSED_PAD src0_sel:BYTE_0
	v_add_co_u32_e32 v42, vcc, v49, v187
	v_cvt_f16_i16_sdwa v201, sext(v43) dst_sel:DWORD dst_unused:UNUSED_PAD src0_sel:BYTE_0
	v_addc_co_u32_e32 v43, vcc, v189, v185, vcc
	v_add_co_u32_e32 v44, vcc, v42, v117
	v_addc_co_u32_e32 v45, vcc, 0, v43, vcc
	global_load_ushort v49, v[42:43], off
	global_load_dword v189, v[44:45], off offset:2
	s_waitcnt vmcnt(12)
	v_pk_lshrrev_b16 v43, 8, v198 op_sel:[1,0] op_sel_hi:[0,0]
	v_pack_b32_f16 v42, v200, v201
	v_lshrrev_b32_e32 v44, 16, v43
	v_pk_mul_f16 v42, v42, v197
	v_cvt_f16_i16_sdwa v43, sext(v43) dst_sel:DWORD dst_unused:UNUSED_PAD src0_sel:BYTE_0
	v_cvt_f16_i16_sdwa v44, sext(v44) dst_sel:DWORD dst_unused:UNUSED_PAD src0_sel:BYTE_0
	v_pk_fma_f16 v196, v42, v34, v196
	v_pk_fma_f16 v190, v42, v38, v190
	v_mul_u32_u24_e32 v42, 0x10001, v193
	v_pack_b32_f16 v43, v43, v44
	v_pk_mul_f16 v193, v43, v42
	v_pk_lshrrev_b16 v43, 8, v198 op_sel:[1,1] op_sel_hi:[0,1]
	v_lshrrev_b32_e32 v44, 16, v43
	v_cvt_f16_i16_sdwa v43, sext(v43) dst_sel:DWORD dst_unused:UNUSED_PAD src0_sel:BYTE_0
	v_cvt_f16_i16_sdwa v44, sext(v44) dst_sel:DWORD dst_unused:UNUSED_PAD src0_sel:BYTE_0
	v_add_co_u32_e32 v198, vcc, s6, v138
	v_pk_fma_f16 v47, v199, v34, v47
	v_pk_fma_f16 v191, v199, v38, v191
	v_pack_b32_f16 v43, v43, v44
	v_addc_co_u32_e32 v199, vcc, v183, v139, vcc
	v_pk_mul_f16 v197, v43, v42
	v_add_co_u32_e32 v42, vcc, v198, v186
	v_addc_co_u32_e32 v43, vcc, v199, v184, vcc
	buffer_store_dword v47, off, s[0:3], 0
	buffer_store_dword v191, off, s[0:3], 0 offset:16
	buffer_store_dword v196, off, s[0:3], 0 offset:4
	;; [unrolled: 1-line block ×3, first 2 shown]
	v_add_co_u32_e32 v44, vcc, v42, v115
	v_addc_co_u32_e32 v45, vcc, 0, v43, vcc
	global_load_ushort v200, v[42:43], off
	global_load_dword v201, v[44:45], off offset:2
	v_add_co_u32_e32 v42, vcc, v198, v187
	v_pk_fma_f16 v192, v193, v34, v192
	v_pk_fma_f16 v188, v193, v38, v188
	v_pk_fma_f16 v34, v197, v34, v48
	v_pk_fma_f16 v38, v197, v38, v46
	v_addc_co_u32_e32 v43, vcc, v199, v185, vcc
	buffer_store_dword v192, off, s[0:3], 0 offset:8
	buffer_store_dword v188, off, s[0:3], 0 offset:24
	;; [unrolled: 1-line block ×4, first 2 shown]
	v_add_co_u32_e32 v44, vcc, v42, v117
	v_addc_co_u32_e32 v45, vcc, 0, v43, vcc
	global_load_ushort v42, v[42:43], off
	s_nop 0
	global_load_dword v43, v[44:45], off offset:2
	v_mul_u32_u24_sdwa v46, v35, s47 dst_sel:DWORD dst_unused:UNUSED_PAD src0_sel:WORD_0 src1_sel:DWORD
	v_mul_u32_u24_sdwa v48, v39, s47 dst_sel:DWORD dst_unused:UNUSED_PAD src0_sel:WORD_0 src1_sel:DWORD
	s_waitcnt vmcnt(15)
	v_mul_u32_u24_e32 v44, 0x10001, v194
	s_waitcnt vmcnt(14)
	v_pk_lshrrev_b16 v45, 8, v195 op_sel:[1,0] op_sel_hi:[0,0]
	v_lshrrev_b32_e32 v193, 16, v45
	v_cvt_f16_i16_sdwa v45, sext(v45) dst_sel:DWORD dst_unused:UNUSED_PAD src0_sel:BYTE_0
	v_cvt_f16_i16_sdwa v193, sext(v193) dst_sel:DWORD dst_unused:UNUSED_PAD src0_sel:BYTE_0
	v_pack_b32_f16 v45, v45, v193
	v_pk_lshrrev_b16 v193, 8, v195 op_sel:[1,1] op_sel_hi:[0,1]
	v_lshrrev_b32_e32 v194, 16, v193
	v_cvt_f16_i16_sdwa v193, sext(v193) dst_sel:DWORD dst_unused:UNUSED_PAD src0_sel:BYTE_0
	v_cvt_f16_i16_sdwa v194, sext(v194) dst_sel:DWORD dst_unused:UNUSED_PAD src0_sel:BYTE_0
	v_pack_b32_f16 v193, v193, v194
	v_pk_mul_f16 v45, v45, v44
	v_pk_mul_f16 v44, v193, v44
	v_pk_fma_f16 v47, v45, v46, v47
	v_pk_fma_f16 v45, v45, v48, v191
	v_pk_fma_f16 v191, v44, v46, v196
	v_pk_fma_f16 v44, v44, v48, v190
	buffer_store_dword v47, off, s[0:3], 0
	buffer_store_dword v45, off, s[0:3], 0 offset:16
	buffer_store_dword v191, off, s[0:3], 0 offset:4
	;; [unrolled: 1-line block ×3, first 2 shown]
	s_waitcnt vmcnt(17)
	v_mul_u32_u24_e32 v49, 0x10001, v49
	s_waitcnt vmcnt(16)
	v_pk_lshrrev_b16 v190, 8, v189 op_sel:[1,0] op_sel_hi:[0,0]
	v_lshrrev_b32_e32 v193, 16, v190
	v_cvt_f16_i16_sdwa v190, sext(v190) dst_sel:DWORD dst_unused:UNUSED_PAD src0_sel:BYTE_0
	v_cvt_f16_i16_sdwa v193, sext(v193) dst_sel:DWORD dst_unused:UNUSED_PAD src0_sel:BYTE_0
	v_pk_lshrrev_b16 v189, 8, v189 op_sel:[1,1] op_sel_hi:[0,1]
	v_pack_b32_f16 v190, v190, v193
	v_lshrrev_b32_e32 v193, 16, v189
	v_cvt_f16_i16_sdwa v189, sext(v189) dst_sel:DWORD dst_unused:UNUSED_PAD src0_sel:BYTE_0
	v_cvt_f16_i16_sdwa v193, sext(v193) dst_sel:DWORD dst_unused:UNUSED_PAD src0_sel:BYTE_0
	v_pk_mul_f16 v190, v190, v49
	v_pack_b32_f16 v189, v189, v193
	v_pk_mul_f16 v49, v189, v49
	v_pk_fma_f16 v189, v190, v46, v192
	v_add_co_u32_e32 v192, vcc, s6, v140
	v_addc_co_u32_e32 v193, vcc, v183, v141, vcc
	v_pk_fma_f16 v46, v49, v46, v34
	v_add_co_u32_e32 v34, vcc, v192, v186
	v_pk_fma_f16 v188, v190, v48, v188
	v_pk_fma_f16 v48, v49, v48, v38
	v_mul_u32_u24_sdwa v49, v35, s47 dst_sel:DWORD dst_unused:UNUSED_PAD src0_sel:WORD_1 src1_sel:DWORD
	v_addc_co_u32_e32 v35, vcc, v193, v184, vcc
	buffer_store_dword v189, off, s[0:3], 0 offset:8
	buffer_store_dword v188, off, s[0:3], 0 offset:24
	;; [unrolled: 1-line block ×4, first 2 shown]
	v_add_co_u32_e32 v38, vcc, v34, v115
	v_mul_u32_u24_sdwa v190, v39, s47 dst_sel:DWORD dst_unused:UNUSED_PAD src0_sel:WORD_1 src1_sel:DWORD
	v_addc_co_u32_e32 v39, vcc, 0, v35, vcc
	global_load_ushort v194, v[34:35], off
	global_load_dword v195, v[38:39], off offset:2
	s_waitcnt vmcnt(17)
	v_mul_u32_u24_e32 v196, 0x10001, v200
	s_waitcnt vmcnt(16)
	v_pk_lshrrev_b16 v34, 8, v201 op_sel:[1,0] op_sel_hi:[0,0]
	v_lshrrev_b32_e32 v35, 16, v34
	v_cvt_f16_i16_sdwa v34, sext(v34) dst_sel:DWORD dst_unused:UNUSED_PAD src0_sel:BYTE_0
	v_cvt_f16_i16_sdwa v35, sext(v35) dst_sel:DWORD dst_unused:UNUSED_PAD src0_sel:BYTE_0
	v_pack_b32_f16 v34, v34, v35
	v_pk_mul_f16 v197, v34, v196
	v_pk_lshrrev_b16 v34, 8, v201 op_sel:[1,1] op_sel_hi:[0,1]
	v_lshrrev_b32_e32 v35, 16, v34
	v_cvt_f16_i16_sdwa v198, sext(v34) dst_sel:DWORD dst_unused:UNUSED_PAD src0_sel:BYTE_0
	v_add_co_u32_e32 v34, vcc, v192, v187
	v_cvt_f16_i16_sdwa v199, sext(v35) dst_sel:DWORD dst_unused:UNUSED_PAD src0_sel:BYTE_0
	v_addc_co_u32_e32 v35, vcc, v193, v185, vcc
	v_add_co_u32_e32 v38, vcc, v34, v117
	v_addc_co_u32_e32 v39, vcc, 0, v35, vcc
	global_load_ushort v192, v[34:35], off
	global_load_dword v193, v[38:39], off offset:2
	s_waitcnt vmcnt(12)
	v_pk_lshrrev_b16 v35, 8, v43 op_sel:[1,0] op_sel_hi:[0,0]
	v_pack_b32_f16 v34, v198, v199
	v_lshrrev_b32_e32 v38, 16, v35
	v_pk_mul_f16 v34, v34, v196
	v_cvt_f16_i16_sdwa v35, sext(v35) dst_sel:DWORD dst_unused:UNUSED_PAD src0_sel:BYTE_0
	v_cvt_f16_i16_sdwa v38, sext(v38) dst_sel:DWORD dst_unused:UNUSED_PAD src0_sel:BYTE_0
	v_pk_fma_f16 v191, v34, v49, v191
	v_pk_fma_f16 v44, v34, v190, v44
	v_mul_u32_u24_e32 v34, 0x10001, v42
	v_pack_b32_f16 v35, v35, v38
	v_pk_mul_f16 v42, v35, v34
	v_pk_lshrrev_b16 v35, 8, v43 op_sel:[1,1] op_sel_hi:[0,1]
	v_lshrrev_b32_e32 v38, 16, v35
	v_cvt_f16_i16_sdwa v35, sext(v35) dst_sel:DWORD dst_unused:UNUSED_PAD src0_sel:BYTE_0
	v_cvt_f16_i16_sdwa v38, sext(v38) dst_sel:DWORD dst_unused:UNUSED_PAD src0_sel:BYTE_0
	v_add_co_u32_e32 v196, vcc, s6, v142
	v_pk_fma_f16 v47, v197, v49, v47
	v_pk_fma_f16 v45, v197, v190, v45
	v_pack_b32_f16 v35, v35, v38
	v_addc_co_u32_e32 v197, vcc, v183, v143, vcc
	v_pk_mul_f16 v43, v35, v34
	v_add_co_u32_e32 v34, vcc, v196, v186
	v_addc_co_u32_e32 v35, vcc, v197, v184, vcc
	buffer_store_dword v47, off, s[0:3], 0
	buffer_store_dword v45, off, s[0:3], 0 offset:16
	buffer_store_dword v191, off, s[0:3], 0 offset:4
	;; [unrolled: 1-line block ×3, first 2 shown]
	v_add_co_u32_e32 v38, vcc, v34, v115
	v_addc_co_u32_e32 v39, vcc, 0, v35, vcc
	global_load_ushort v198, v[34:35], off
	global_load_dword v199, v[38:39], off offset:2
	v_add_co_u32_e32 v34, vcc, v196, v187
	v_pk_fma_f16 v189, v42, v49, v189
	v_pk_fma_f16 v42, v42, v190, v188
	;; [unrolled: 1-line block ×4, first 2 shown]
	v_addc_co_u32_e32 v35, vcc, v197, v185, vcc
	buffer_store_dword v189, off, s[0:3], 0 offset:8
	buffer_store_dword v42, off, s[0:3], 0 offset:24
	;; [unrolled: 1-line block ×4, first 2 shown]
	v_add_co_u32_e32 v38, vcc, v34, v117
	v_addc_co_u32_e32 v39, vcc, 0, v35, vcc
	global_load_ushort v188, v[34:35], off
	global_load_dword v190, v[38:39], off offset:2
	v_mul_u32_u24_sdwa v48, v36, s47 dst_sel:DWORD dst_unused:UNUSED_PAD src0_sel:WORD_0 src1_sel:DWORD
	v_mul_u32_u24_sdwa v49, v40, s47 dst_sel:DWORD dst_unused:UNUSED_PAD src0_sel:WORD_0 src1_sel:DWORD
	v_mul_u32_u24_sdwa v36, v36, s47 dst_sel:DWORD dst_unused:UNUSED_PAD src0_sel:WORD_1 src1_sel:DWORD
	v_mul_u32_u24_sdwa v40, v40, s47 dst_sel:DWORD dst_unused:UNUSED_PAD src0_sel:WORD_1 src1_sel:DWORD
	s_waitcnt vmcnt(15)
	v_mul_u32_u24_e32 v34, 0x10001, v194
	s_waitcnt vmcnt(14)
	v_pk_lshrrev_b16 v35, 8, v195 op_sel:[1,0] op_sel_hi:[0,0]
	v_lshrrev_b32_e32 v38, 16, v35
	v_cvt_f16_i16_sdwa v35, sext(v35) dst_sel:DWORD dst_unused:UNUSED_PAD src0_sel:BYTE_0
	v_cvt_f16_i16_sdwa v38, sext(v38) dst_sel:DWORD dst_unused:UNUSED_PAD src0_sel:BYTE_0
	v_pack_b32_f16 v35, v35, v38
	v_pk_lshrrev_b16 v38, 8, v195 op_sel:[1,1] op_sel_hi:[0,1]
	v_lshrrev_b32_e32 v39, 16, v38
	v_pk_mul_f16 v35, v35, v34
	v_cvt_f16_i16_sdwa v38, sext(v38) dst_sel:DWORD dst_unused:UNUSED_PAD src0_sel:BYTE_0
	v_cvt_f16_i16_sdwa v39, sext(v39) dst_sel:DWORD dst_unused:UNUSED_PAD src0_sel:BYTE_0
	v_pack_b32_f16 v38, v38, v39
	v_pk_fma_f16 v47, v35, v48, v47
	v_pk_fma_f16 v45, v35, v49, v45
	v_pk_mul_f16 v34, v38, v34
	v_pk_fma_f16 v191, v34, v48, v191
	v_pk_fma_f16 v44, v34, v49, v44
	buffer_store_dword v47, off, s[0:3], 0
	buffer_store_dword v45, off, s[0:3], 0 offset:16
	buffer_store_dword v191, off, s[0:3], 0 offset:4
	s_waitcnt vmcnt(16)
	v_mul_u32_u24_e32 v34, 0x10001, v192
	s_waitcnt vmcnt(15)
	v_pk_lshrrev_b16 v35, 8, v193 op_sel:[1,0] op_sel_hi:[0,0]
	v_lshrrev_b32_e32 v38, 16, v35
	v_cvt_f16_i16_sdwa v35, sext(v35) dst_sel:DWORD dst_unused:UNUSED_PAD src0_sel:BYTE_0
	v_cvt_f16_i16_sdwa v38, sext(v38) dst_sel:DWORD dst_unused:UNUSED_PAD src0_sel:BYTE_0
	v_pack_b32_f16 v35, v35, v38
	v_pk_lshrrev_b16 v38, 8, v193 op_sel:[1,1] op_sel_hi:[0,1]
	v_lshrrev_b32_e32 v39, 16, v38
	v_cvt_f16_i16_sdwa v38, sext(v38) dst_sel:DWORD dst_unused:UNUSED_PAD src0_sel:BYTE_0
	v_cvt_f16_i16_sdwa v39, sext(v39) dst_sel:DWORD dst_unused:UNUSED_PAD src0_sel:BYTE_0
	v_pack_b32_f16 v38, v38, v39
	v_pk_mul_f16 v35, v35, v34
	v_pk_mul_f16 v34, v38, v34
	v_pk_fma_f16 v189, v35, v48, v189
	v_pk_fma_f16 v46, v34, v48, v46
	v_add_co_u32_e32 v48, vcc, s6, v144
	v_pk_fma_f16 v42, v35, v49, v42
	v_pk_fma_f16 v43, v34, v49, v43
	v_addc_co_u32_e32 v49, vcc, v183, v145, vcc
	v_add_co_u32_e32 v34, vcc, v48, v186
	v_addc_co_u32_e32 v35, vcc, v49, v184, vcc
	buffer_store_dword v44, off, s[0:3], 0 offset:20
	buffer_store_dword v189, off, s[0:3], 0 offset:8
	;; [unrolled: 1-line block ×5, first 2 shown]
	v_add_co_u32_e32 v38, vcc, v34, v115
	v_addc_co_u32_e32 v39, vcc, 0, v35, vcc
	global_load_ushort v192, v[34:35], off
	global_load_dword v193, v[38:39], off offset:2
	s_waitcnt vmcnt(17)
	v_mul_u32_u24_e32 v194, 0x10001, v198
	s_waitcnt vmcnt(16)
	v_pk_lshrrev_b16 v34, 8, v199 op_sel:[1,0] op_sel_hi:[0,0]
	v_lshrrev_b32_e32 v35, 16, v34
	v_cvt_f16_i16_sdwa v34, sext(v34) dst_sel:DWORD dst_unused:UNUSED_PAD src0_sel:BYTE_0
	v_cvt_f16_i16_sdwa v35, sext(v35) dst_sel:DWORD dst_unused:UNUSED_PAD src0_sel:BYTE_0
	v_pack_b32_f16 v34, v34, v35
	v_pk_mul_f16 v195, v34, v194
	v_pk_lshrrev_b16 v34, 8, v199 op_sel:[1,1] op_sel_hi:[0,1]
	v_lshrrev_b32_e32 v35, 16, v34
	v_cvt_f16_i16_sdwa v196, sext(v34) dst_sel:DWORD dst_unused:UNUSED_PAD src0_sel:BYTE_0
	v_add_co_u32_e32 v34, vcc, v48, v187
	v_cvt_f16_i16_sdwa v197, sext(v35) dst_sel:DWORD dst_unused:UNUSED_PAD src0_sel:BYTE_0
	v_addc_co_u32_e32 v35, vcc, v49, v185, vcc
	v_add_co_u32_e32 v38, vcc, v34, v117
	v_addc_co_u32_e32 v39, vcc, 0, v35, vcc
	global_load_ushort v48, v[34:35], off
	global_load_dword v49, v[38:39], off offset:2
	v_pack_b32_f16 v34, v196, v197
	v_pk_mul_f16 v34, v34, v194
	v_add_co_u32_e32 v194, vcc, s6, v146
	v_pk_fma_f16 v47, v195, v36, v47
	v_pk_fma_f16 v45, v195, v40, v45
	v_addc_co_u32_e32 v195, vcc, v183, v147, vcc
	v_pk_fma_f16 v191, v34, v36, v191
	v_pk_fma_f16 v44, v34, v40, v44
	v_add_co_u32_e32 v34, vcc, v194, v186
	v_addc_co_u32_e32 v35, vcc, v195, v184, vcc
	buffer_store_dword v47, off, s[0:3], 0
	buffer_store_dword v45, off, s[0:3], 0 offset:16
	buffer_store_dword v191, off, s[0:3], 0 offset:4
	v_add_co_u32_e32 v38, vcc, v34, v115
	v_addc_co_u32_e32 v39, vcc, 0, v35, vcc
	global_load_ushort v196, v[34:35], off
	global_load_dword v197, v[38:39], off offset:2
	s_waitcnt vmcnt(17)
	v_pk_lshrrev_b16 v35, 8, v190 op_sel:[1,0] op_sel_hi:[0,0]
	v_lshrrev_b32_e32 v38, 16, v35
	v_cvt_f16_i16_sdwa v35, sext(v35) dst_sel:DWORD dst_unused:UNUSED_PAD src0_sel:BYTE_0
	v_cvt_f16_i16_sdwa v38, sext(v38) dst_sel:DWORD dst_unused:UNUSED_PAD src0_sel:BYTE_0
	v_pack_b32_f16 v35, v35, v38
	v_pk_lshrrev_b16 v38, 8, v190 op_sel:[1,1] op_sel_hi:[0,1]
	v_lshrrev_b32_e32 v39, 16, v38
	v_cvt_f16_i16_sdwa v38, sext(v38) dst_sel:DWORD dst_unused:UNUSED_PAD src0_sel:BYTE_0
	v_cvt_f16_i16_sdwa v39, sext(v39) dst_sel:DWORD dst_unused:UNUSED_PAD src0_sel:BYTE_0
	v_mul_u32_u24_e32 v34, 0x10001, v188
	v_pack_b32_f16 v38, v38, v39
	v_pk_mul_f16 v35, v35, v34
	v_pk_mul_f16 v34, v38, v34
	v_pk_fma_f16 v188, v35, v36, v189
	v_pk_fma_f16 v42, v35, v40, v42
	;; [unrolled: 1-line block ×4, first 2 shown]
	v_add_co_u32_e32 v34, vcc, v194, v187
	v_addc_co_u32_e32 v35, vcc, v195, v185, vcc
	buffer_store_dword v44, off, s[0:3], 0 offset:20
	buffer_store_dword v188, off, s[0:3], 0 offset:8
	;; [unrolled: 1-line block ×5, first 2 shown]
	v_add_co_u32_e32 v38, vcc, v34, v117
	v_addc_co_u32_e32 v39, vcc, 0, v35, vcc
	global_load_ushort v198, v[34:35], off
	s_nop 0
	global_load_dword v38, v[38:39], off offset:2
	v_mul_u32_u24_sdwa v43, v37, s47 dst_sel:DWORD dst_unused:UNUSED_PAD src0_sel:WORD_0 src1_sel:DWORD
	v_mul_u32_u24_sdwa v46, v41, s47 dst_sel:DWORD dst_unused:UNUSED_PAD src0_sel:WORD_0 src1_sel:DWORD
	v_mul_u32_u24_sdwa v41, v41, s47 dst_sel:DWORD dst_unused:UNUSED_PAD src0_sel:WORD_1 src1_sel:DWORD
	s_waitcnt vmcnt(15)
	v_mul_u32_u24_e32 v34, 0x10001, v192
	s_waitcnt vmcnt(14)
	v_pk_lshrrev_b16 v35, 8, v193 op_sel:[1,0] op_sel_hi:[0,0]
	v_lshrrev_b32_e32 v39, 16, v35
	v_cvt_f16_i16_sdwa v35, sext(v35) dst_sel:DWORD dst_unused:UNUSED_PAD src0_sel:BYTE_0
	v_cvt_f16_i16_sdwa v39, sext(v39) dst_sel:DWORD dst_unused:UNUSED_PAD src0_sel:BYTE_0
	v_pack_b32_f16 v35, v35, v39
	v_pk_lshrrev_b16 v39, 8, v193 op_sel:[1,1] op_sel_hi:[0,1]
	v_lshrrev_b32_e32 v189, 16, v39
	v_cvt_f16_i16_sdwa v39, sext(v39) dst_sel:DWORD dst_unused:UNUSED_PAD src0_sel:BYTE_0
	v_cvt_f16_i16_sdwa v189, sext(v189) dst_sel:DWORD dst_unused:UNUSED_PAD src0_sel:BYTE_0
	v_pk_mul_f16 v35, v35, v34
	v_pack_b32_f16 v39, v39, v189
	v_pk_mul_f16 v34, v39, v34
	v_pk_fma_f16 v39, v35, v43, v47
	v_pk_fma_f16 v45, v35, v46, v45
	;; [unrolled: 1-line block ×4, first 2 shown]
	v_add_co_u32_e32 v192, vcc, s6, v148
	v_addc_co_u32_e32 v193, vcc, v183, v149, vcc
	s_waitcnt vmcnt(13)
	v_mul_u32_u24_e32 v34, 0x10001, v48
	s_waitcnt vmcnt(12)
	v_pk_lshrrev_b16 v35, 8, v49 op_sel:[1,0] op_sel_hi:[0,0]
	v_lshrrev_b32_e32 v48, 16, v35
	v_cvt_f16_i16_sdwa v35, sext(v35) dst_sel:DWORD dst_unused:UNUSED_PAD src0_sel:BYTE_0
	v_cvt_f16_i16_sdwa v48, sext(v48) dst_sel:DWORD dst_unused:UNUSED_PAD src0_sel:BYTE_0
	v_pack_b32_f16 v35, v35, v48
	v_pk_lshrrev_b16 v48, 8, v49 op_sel:[1,1] op_sel_hi:[0,1]
	v_lshrrev_b32_e32 v49, 16, v48
	v_cvt_f16_i16_sdwa v48, sext(v48) dst_sel:DWORD dst_unused:UNUSED_PAD src0_sel:BYTE_0
	v_cvt_f16_i16_sdwa v49, sext(v49) dst_sel:DWORD dst_unused:UNUSED_PAD src0_sel:BYTE_0
	v_pack_b32_f16 v48, v48, v49
	v_pk_mul_f16 v35, v35, v34
	v_pk_mul_f16 v34, v48, v34
	v_pk_fma_f16 v48, v35, v43, v188
	v_pk_fma_f16 v43, v34, v43, v36
	;; [unrolled: 1-line block ×4, first 2 shown]
	buffer_store_dword v39, off, s[0:3], 0
	buffer_store_dword v45, off, s[0:3], 0 offset:16
	buffer_store_dword v47, off, s[0:3], 0 offset:4
	;; [unrolled: 1-line block ×5, first 2 shown]
	s_waitcnt vmcnt(13)
	v_pk_lshrrev_b16 v34, 8, v197 op_sel:[1,0] op_sel_hi:[0,0]
	v_lshrrev_b32_e32 v189, 16, v34
	v_cvt_f16_i16_sdwa v191, sext(v34) dst_sel:DWORD dst_unused:UNUSED_PAD src0_sel:BYTE_0
	v_add_co_u32_e32 v34, vcc, v192, v186
	v_addc_co_u32_e32 v35, vcc, v193, v184, vcc
	buffer_store_dword v43, off, s[0:3], 0 offset:12
	buffer_store_dword v40, off, s[0:3], 0 offset:28
	v_add_co_u32_e32 v36, vcc, v34, v115
	v_mul_u32_u24_sdwa v46, v37, s47 dst_sel:DWORD dst_unused:UNUSED_PAD src0_sel:WORD_1 src1_sel:DWORD
	v_addc_co_u32_e32 v37, vcc, 0, v35, vcc
	global_load_ushort v190, v[34:35], off
	global_load_dword v188, v[36:37], off offset:2
	v_cvt_f16_i16_sdwa v34, sext(v189) dst_sel:DWORD dst_unused:UNUSED_PAD src0_sel:BYTE_0
	v_mul_u32_u24_e32 v49, 0x10001, v196
	v_pack_b32_f16 v34, v191, v34
	v_pk_mul_f16 v194, v34, v49
	v_pk_lshrrev_b16 v34, 8, v197 op_sel:[1,1] op_sel_hi:[0,1]
	v_lshrrev_b32_e32 v35, 16, v34
	v_cvt_f16_i16_sdwa v34, sext(v34) dst_sel:DWORD dst_unused:UNUSED_PAD src0_sel:BYTE_0
	v_cvt_f16_i16_sdwa v35, sext(v35) dst_sel:DWORD dst_unused:UNUSED_PAD src0_sel:BYTE_0
	v_pack_b32_f16 v34, v34, v35
	v_pk_mul_f16 v49, v34, v49
	v_add_co_u32_e32 v34, vcc, v192, v187
	v_pk_fma_f16 v189, v194, v46, v39
	v_addc_co_u32_e32 v35, vcc, v193, v185, vcc
	buffer_store_dword v189, off, s[0:3], 0
	v_add_co_u32_e32 v36, vcc, v34, v117
	v_addc_co_u32_e32 v37, vcc, 0, v35, vcc
	global_load_ushort v192, v[34:35], off
	global_load_dword v191, v[36:37], off offset:2
	s_waitcnt vmcnt(13)
	v_pk_lshrrev_b16 v35, 8, v38 op_sel:[1,0] op_sel_hi:[0,0]
	v_lshrrev_b32_e32 v36, 16, v35
	v_cvt_f16_i16_sdwa v35, sext(v35) dst_sel:DWORD dst_unused:UNUSED_PAD src0_sel:BYTE_0
	v_cvt_f16_i16_sdwa v36, sext(v36) dst_sel:DWORD dst_unused:UNUSED_PAD src0_sel:BYTE_0
	v_pack_b32_f16 v35, v35, v36
	v_pk_lshrrev_b16 v36, 8, v38 op_sel:[1,1] op_sel_hi:[0,1]
	v_lshrrev_b32_e32 v37, 16, v36
	v_cvt_f16_i16_sdwa v36, sext(v36) dst_sel:DWORD dst_unused:UNUSED_PAD src0_sel:BYTE_0
	v_cvt_f16_i16_sdwa v37, sext(v37) dst_sel:DWORD dst_unused:UNUSED_PAD src0_sel:BYTE_0
	v_add_co_u32_e32 v200, vcc, s6, v150
	v_mul_u32_u24_e32 v34, 0x10001, v198
	v_pack_b32_f16 v36, v36, v37
	v_addc_co_u32_e32 v201, vcc, v183, v151, vcc
	v_pk_mul_f16 v35, v35, v34
	v_pk_mul_f16 v38, v36, v34
	v_add_co_u32_e32 v34, vcc, v200, v186
	v_pk_fma_f16 v193, v194, v41, v45
	v_pk_fma_f16 v194, v49, v46, v47
	;; [unrolled: 1-line block ×5, first 2 shown]
	v_addc_co_u32_e32 v35, vcc, v201, v184, vcc
	buffer_store_dword v193, off, s[0:3], 0 offset:16
	buffer_store_dword v194, off, s[0:3], 0 offset:4
	;; [unrolled: 1-line block ×5, first 2 shown]
	v_add_co_u32_e32 v36, vcc, v34, v115
	v_addc_co_u32_e32 v37, vcc, 0, v35, vcc
	global_load_ushort v199, v[34:35], off
	global_load_dword v198, v[36:37], off offset:2
	v_add_co_u32_e32 v200, vcc, v200, v187
	v_pk_fma_f16 v204, v38, v46, v43
	v_pk_fma_f16 v205, v38, v41, v40
	v_addc_co_u32_e32 v201, vcc, v201, v185, vcc
	buffer_store_dword v204, off, s[0:3], 0 offset:12
	buffer_store_dword v205, off, s[0:3], 0 offset:28
	v_add_co_u32_e32 v202, vcc, v200, v117
	ds_read_b128 v[42:45], v112 offset:32
	ds_read_b128 v[34:37], v112 offset:48
	;; [unrolled: 1-line block ×4, first 2 shown]
	v_addc_co_u32_e32 v203, vcc, 0, v201, vcc
	global_load_ushort v200, v[200:201], off
	s_nop 0
	global_load_dword v201, v[202:203], off offset:2
	s_waitcnt lgkmcnt(3)
	v_mul_u32_u24_sdwa v206, v42, s47 dst_sel:DWORD dst_unused:UNUSED_PAD src0_sel:WORD_0 src1_sel:DWORD
	s_waitcnt lgkmcnt(1)
	v_mul_u32_u24_sdwa v207, v46, s47 dst_sel:DWORD dst_unused:UNUSED_PAD src0_sel:WORD_0 src1_sel:DWORD
	v_mul_u32_u24_sdwa v42, v42, s47 dst_sel:DWORD dst_unused:UNUSED_PAD src0_sel:WORD_1 src1_sel:DWORD
	v_mul_u32_u24_sdwa v46, v46, s47 dst_sel:DWORD dst_unused:UNUSED_PAD src0_sel:WORD_1 src1_sel:DWORD
	s_waitcnt vmcnt(15)
	v_mul_u32_u24_e32 v190, 0x10001, v190
	s_waitcnt vmcnt(14)
	v_pk_lshrrev_b16 v202, 8, v188 op_sel:[1,0] op_sel_hi:[0,0]
	v_lshrrev_b32_e32 v203, 16, v202
	v_cvt_f16_i16_sdwa v202, sext(v202) dst_sel:DWORD dst_unused:UNUSED_PAD src0_sel:BYTE_0
	v_cvt_f16_i16_sdwa v203, sext(v203) dst_sel:DWORD dst_unused:UNUSED_PAD src0_sel:BYTE_0
	v_pk_lshrrev_b16 v188, 8, v188 op_sel:[1,1] op_sel_hi:[0,1]
	v_pack_b32_f16 v202, v202, v203
	v_lshrrev_b32_e32 v203, 16, v188
	v_pk_mul_f16 v202, v202, v190
	v_cvt_f16_i16_sdwa v188, sext(v188) dst_sel:DWORD dst_unused:UNUSED_PAD src0_sel:BYTE_0
	v_cvt_f16_i16_sdwa v203, sext(v203) dst_sel:DWORD dst_unused:UNUSED_PAD src0_sel:BYTE_0
	v_pack_b32_f16 v188, v188, v203
	v_pk_fma_f16 v203, v202, v206, v189
	v_pk_mul_f16 v188, v188, v190
	v_pk_fma_f16 v194, v188, v206, v194
	v_pk_fma_f16 v195, v188, v207, v195
	v_pk_fma_f16 v193, v202, v207, v193
	buffer_store_dword v203, off, s[0:3], 0
	buffer_store_dword v193, off, s[0:3], 0 offset:16
	buffer_store_dword v194, off, s[0:3], 0 offset:4
	;; [unrolled: 1-line block ×3, first 2 shown]
	s_waitcnt vmcnt(16)
	v_mul_u32_u24_e32 v188, 0x10001, v192
	s_waitcnt vmcnt(15)
	v_pk_lshrrev_b16 v189, 8, v191 op_sel:[1,0] op_sel_hi:[0,0]
	v_lshrrev_b32_e32 v190, 16, v189
	v_cvt_f16_i16_sdwa v189, sext(v189) dst_sel:DWORD dst_unused:UNUSED_PAD src0_sel:BYTE_0
	v_cvt_f16_i16_sdwa v190, sext(v190) dst_sel:DWORD dst_unused:UNUSED_PAD src0_sel:BYTE_0
	v_pack_b32_f16 v189, v189, v190
	v_pk_lshrrev_b16 v190, 8, v191 op_sel:[1,1] op_sel_hi:[0,1]
	v_lshrrev_b32_e32 v191, 16, v190
	v_cvt_f16_i16_sdwa v190, sext(v190) dst_sel:DWORD dst_unused:UNUSED_PAD src0_sel:BYTE_0
	v_cvt_f16_i16_sdwa v191, sext(v191) dst_sel:DWORD dst_unused:UNUSED_PAD src0_sel:BYTE_0
	v_pack_b32_f16 v190, v190, v191
	v_pk_mul_f16 v189, v189, v188
	v_pk_mul_f16 v188, v190, v188
	v_pk_fma_f16 v192, v189, v206, v196
	v_pk_fma_f16 v196, v189, v207, v197
	;; [unrolled: 1-line block ×3, first 2 shown]
	v_add_co_u32_e32 v204, vcc, s6, v152
	v_pk_fma_f16 v202, v188, v207, v205
	v_addc_co_u32_e32 v205, vcc, v183, v153, vcc
	v_add_co_u32_e32 v188, vcc, v204, v186
	v_addc_co_u32_e32 v189, vcc, v205, v184, vcc
	buffer_store_dword v192, off, s[0:3], 0 offset:8
	buffer_store_dword v196, off, s[0:3], 0 offset:24
	;; [unrolled: 1-line block ×4, first 2 shown]
	v_add_co_u32_e32 v190, vcc, v188, v115
	v_addc_co_u32_e32 v191, vcc, 0, v189, vcc
	global_load_ushort v206, v[188:189], off
	global_load_dword v207, v[190:191], off offset:2
	s_waitcnt vmcnt(15)
	v_mul_u32_u24_e32 v199, 0x10001, v199
	s_waitcnt vmcnt(14)
	v_pk_lshrrev_b16 v188, 8, v198 op_sel:[1,0] op_sel_hi:[0,0]
	v_lshrrev_b32_e32 v189, 16, v188
	v_cvt_f16_i16_sdwa v188, sext(v188) dst_sel:DWORD dst_unused:UNUSED_PAD src0_sel:BYTE_0
	v_cvt_f16_i16_sdwa v189, sext(v189) dst_sel:DWORD dst_unused:UNUSED_PAD src0_sel:BYTE_0
	v_pack_b32_f16 v188, v188, v189
	v_pk_mul_f16 v208, v188, v199
	v_pk_lshrrev_b16 v188, 8, v198 op_sel:[1,1] op_sel_hi:[0,1]
	v_lshrrev_b32_e32 v189, 16, v188
	v_cvt_f16_i16_sdwa v198, sext(v188) dst_sel:DWORD dst_unused:UNUSED_PAD src0_sel:BYTE_0
	v_add_co_u32_e32 v188, vcc, v204, v187
	v_cvt_f16_i16_sdwa v209, sext(v189) dst_sel:DWORD dst_unused:UNUSED_PAD src0_sel:BYTE_0
	v_addc_co_u32_e32 v189, vcc, v205, v185, vcc
	v_add_co_u32_e32 v190, vcc, v188, v117
	v_addc_co_u32_e32 v191, vcc, 0, v189, vcc
	global_load_ushort v204, v[188:189], off
	global_load_dword v205, v[190:191], off offset:2
	s_waitcnt vmcnt(12)
	v_pk_lshrrev_b16 v189, 8, v201 op_sel:[1,0] op_sel_hi:[0,0]
	v_pack_b32_f16 v188, v198, v209
	v_lshrrev_b32_e32 v190, 16, v189
	v_pk_mul_f16 v188, v188, v199
	v_cvt_f16_i16_sdwa v189, sext(v189) dst_sel:DWORD dst_unused:UNUSED_PAD src0_sel:BYTE_0
	v_cvt_f16_i16_sdwa v190, sext(v190) dst_sel:DWORD dst_unused:UNUSED_PAD src0_sel:BYTE_0
	v_pk_fma_f16 v194, v188, v42, v194
	v_pk_fma_f16 v195, v188, v46, v195
	v_mul_u32_u24_e32 v188, 0x10001, v200
	v_pack_b32_f16 v189, v189, v190
	v_pk_mul_f16 v199, v189, v188
	v_pk_lshrrev_b16 v189, 8, v201 op_sel:[1,1] op_sel_hi:[0,1]
	v_lshrrev_b32_e32 v190, 16, v189
	v_cvt_f16_i16_sdwa v189, sext(v189) dst_sel:DWORD dst_unused:UNUSED_PAD src0_sel:BYTE_0
	v_cvt_f16_i16_sdwa v190, sext(v190) dst_sel:DWORD dst_unused:UNUSED_PAD src0_sel:BYTE_0
	v_add_co_u32_e32 v201, vcc, s6, v154
	v_pk_fma_f16 v198, v208, v42, v203
	v_pack_b32_f16 v189, v189, v190
	v_addc_co_u32_e32 v203, vcc, v183, v155, vcc
	v_pk_mul_f16 v200, v189, v188
	v_add_co_u32_e32 v188, vcc, v201, v186
	v_pk_fma_f16 v193, v208, v46, v193
	v_addc_co_u32_e32 v189, vcc, v203, v184, vcc
	buffer_store_dword v198, off, s[0:3], 0
	buffer_store_dword v193, off, s[0:3], 0 offset:16
	buffer_store_dword v194, off, s[0:3], 0 offset:4
	;; [unrolled: 1-line block ×3, first 2 shown]
	v_add_co_u32_e32 v190, vcc, v188, v115
	v_addc_co_u32_e32 v191, vcc, 0, v189, vcc
	global_load_ushort v208, v[188:189], off
	global_load_dword v209, v[190:191], off offset:2
	v_add_co_u32_e32 v188, vcc, v201, v187
	v_pk_fma_f16 v192, v199, v42, v192
	v_pk_fma_f16 v196, v199, v46, v196
	v_pk_fma_f16 v42, v200, v42, v197
	v_pk_fma_f16 v46, v200, v46, v202
	v_addc_co_u32_e32 v189, vcc, v203, v185, vcc
	buffer_store_dword v192, off, s[0:3], 0 offset:8
	buffer_store_dword v196, off, s[0:3], 0 offset:24
	;; [unrolled: 1-line block ×4, first 2 shown]
	v_add_co_u32_e32 v190, vcc, v188, v117
	v_addc_co_u32_e32 v191, vcc, 0, v189, vcc
	global_load_ushort v188, v[188:189], off
	s_nop 0
	global_load_dword v189, v[190:191], off offset:2
	v_mul_u32_u24_sdwa v197, v43, s47 dst_sel:DWORD dst_unused:UNUSED_PAD src0_sel:WORD_0 src1_sel:DWORD
	v_mul_u32_u24_sdwa v199, v47, s47 dst_sel:DWORD dst_unused:UNUSED_PAD src0_sel:WORD_0 src1_sel:DWORD
	s_waitcnt vmcnt(15)
	v_mul_u32_u24_e32 v190, 0x10001, v206
	s_waitcnt vmcnt(14)
	v_pk_lshrrev_b16 v191, 8, v207 op_sel:[1,0] op_sel_hi:[0,0]
	v_lshrrev_b32_e32 v200, 16, v191
	v_cvt_f16_i16_sdwa v191, sext(v191) dst_sel:DWORD dst_unused:UNUSED_PAD src0_sel:BYTE_0
	v_cvt_f16_i16_sdwa v200, sext(v200) dst_sel:DWORD dst_unused:UNUSED_PAD src0_sel:BYTE_0
	v_pack_b32_f16 v191, v191, v200
	v_pk_lshrrev_b16 v200, 8, v207 op_sel:[1,1] op_sel_hi:[0,1]
	v_lshrrev_b32_e32 v201, 16, v200
	v_cvt_f16_i16_sdwa v200, sext(v200) dst_sel:DWORD dst_unused:UNUSED_PAD src0_sel:BYTE_0
	v_cvt_f16_i16_sdwa v201, sext(v201) dst_sel:DWORD dst_unused:UNUSED_PAD src0_sel:BYTE_0
	v_pack_b32_f16 v200, v200, v201
	v_pk_mul_f16 v191, v191, v190
	v_pk_mul_f16 v190, v200, v190
	v_pk_fma_f16 v198, v191, v197, v198
	v_pk_fma_f16 v191, v191, v199, v193
	;; [unrolled: 1-line block ×4, first 2 shown]
	buffer_store_dword v198, off, s[0:3], 0
	buffer_store_dword v191, off, s[0:3], 0 offset:16
	buffer_store_dword v193, off, s[0:3], 0 offset:4
	;; [unrolled: 1-line block ×3, first 2 shown]
	s_waitcnt vmcnt(17)
	v_mul_u32_u24_e32 v194, 0x10001, v204
	s_waitcnt vmcnt(16)
	v_pk_lshrrev_b16 v195, 8, v205 op_sel:[1,0] op_sel_hi:[0,0]
	v_lshrrev_b32_e32 v200, 16, v195
	v_cvt_f16_i16_sdwa v195, sext(v195) dst_sel:DWORD dst_unused:UNUSED_PAD src0_sel:BYTE_0
	v_cvt_f16_i16_sdwa v200, sext(v200) dst_sel:DWORD dst_unused:UNUSED_PAD src0_sel:BYTE_0
	v_pack_b32_f16 v195, v195, v200
	v_pk_lshrrev_b16 v200, 8, v205 op_sel:[1,1] op_sel_hi:[0,1]
	v_lshrrev_b32_e32 v201, 16, v200
	v_cvt_f16_i16_sdwa v200, sext(v200) dst_sel:DWORD dst_unused:UNUSED_PAD src0_sel:BYTE_0
	v_cvt_f16_i16_sdwa v201, sext(v201) dst_sel:DWORD dst_unused:UNUSED_PAD src0_sel:BYTE_0
	v_pack_b32_f16 v200, v200, v201
	v_pk_mul_f16 v195, v195, v194
	v_pk_mul_f16 v194, v200, v194
	v_add_co_u32_e32 v200, vcc, s6, v156
	v_addc_co_u32_e32 v201, vcc, v183, v157, vcc
	v_pk_fma_f16 v192, v195, v197, v192
	v_pk_fma_f16 v195, v195, v199, v196
	;; [unrolled: 1-line block ×3, first 2 shown]
	v_add_co_u32_e32 v42, vcc, v200, v186
	v_pk_fma_f16 v194, v194, v199, v46
	v_mul_u32_u24_sdwa v197, v43, s47 dst_sel:DWORD dst_unused:UNUSED_PAD src0_sel:WORD_1 src1_sel:DWORD
	v_addc_co_u32_e32 v43, vcc, v201, v184, vcc
	buffer_store_dword v192, off, s[0:3], 0 offset:8
	buffer_store_dword v195, off, s[0:3], 0 offset:24
	;; [unrolled: 1-line block ×4, first 2 shown]
	v_add_co_u32_e32 v46, vcc, v42, v115
	v_mul_u32_u24_sdwa v199, v47, s47 dst_sel:DWORD dst_unused:UNUSED_PAD src0_sel:WORD_1 src1_sel:DWORD
	v_addc_co_u32_e32 v47, vcc, 0, v43, vcc
	global_load_ushort v202, v[42:43], off
	global_load_dword v203, v[46:47], off offset:2
	s_waitcnt vmcnt(17)
	v_mul_u32_u24_e32 v204, 0x10001, v208
	s_waitcnt vmcnt(16)
	v_pk_lshrrev_b16 v42, 8, v209 op_sel:[1,0] op_sel_hi:[0,0]
	v_lshrrev_b32_e32 v43, 16, v42
	v_cvt_f16_i16_sdwa v42, sext(v42) dst_sel:DWORD dst_unused:UNUSED_PAD src0_sel:BYTE_0
	v_cvt_f16_i16_sdwa v43, sext(v43) dst_sel:DWORD dst_unused:UNUSED_PAD src0_sel:BYTE_0
	v_pack_b32_f16 v42, v42, v43
	v_pk_mul_f16 v205, v42, v204
	v_pk_lshrrev_b16 v42, 8, v209 op_sel:[1,1] op_sel_hi:[0,1]
	v_lshrrev_b32_e32 v43, 16, v42
	v_cvt_f16_i16_sdwa v206, sext(v42) dst_sel:DWORD dst_unused:UNUSED_PAD src0_sel:BYTE_0
	v_add_co_u32_e32 v42, vcc, v200, v187
	v_cvt_f16_i16_sdwa v207, sext(v43) dst_sel:DWORD dst_unused:UNUSED_PAD src0_sel:BYTE_0
	v_addc_co_u32_e32 v43, vcc, v201, v185, vcc
	v_add_co_u32_e32 v46, vcc, v42, v117
	v_addc_co_u32_e32 v47, vcc, 0, v43, vcc
	global_load_ushort v200, v[42:43], off
	global_load_dword v201, v[46:47], off offset:2
	s_waitcnt vmcnt(12)
	v_pk_lshrrev_b16 v43, 8, v189 op_sel:[1,0] op_sel_hi:[0,0]
	v_pack_b32_f16 v42, v206, v207
	v_lshrrev_b32_e32 v46, 16, v43
	v_pk_mul_f16 v42, v42, v204
	v_cvt_f16_i16_sdwa v43, sext(v43) dst_sel:DWORD dst_unused:UNUSED_PAD src0_sel:BYTE_0
	v_cvt_f16_i16_sdwa v46, sext(v46) dst_sel:DWORD dst_unused:UNUSED_PAD src0_sel:BYTE_0
	v_pk_fma_f16 v193, v42, v197, v193
	v_pk_fma_f16 v190, v42, v199, v190
	v_mul_u32_u24_e32 v42, 0x10001, v188
	v_pack_b32_f16 v43, v43, v46
	v_pk_mul_f16 v188, v43, v42
	v_pk_lshrrev_b16 v43, 8, v189 op_sel:[1,1] op_sel_hi:[0,1]
	v_lshrrev_b32_e32 v46, 16, v43
	v_cvt_f16_i16_sdwa v43, sext(v43) dst_sel:DWORD dst_unused:UNUSED_PAD src0_sel:BYTE_0
	v_cvt_f16_i16_sdwa v46, sext(v46) dst_sel:DWORD dst_unused:UNUSED_PAD src0_sel:BYTE_0
	v_add_co_u32_e32 v204, vcc, s6, v158
	v_pk_fma_f16 v198, v205, v197, v198
	v_pk_fma_f16 v191, v205, v199, v191
	v_pack_b32_f16 v43, v43, v46
	v_addc_co_u32_e32 v205, vcc, v183, v159, vcc
	v_pk_mul_f16 v189, v43, v42
	v_add_co_u32_e32 v42, vcc, v204, v186
	v_addc_co_u32_e32 v43, vcc, v205, v184, vcc
	buffer_store_dword v198, off, s[0:3], 0
	buffer_store_dword v191, off, s[0:3], 0 offset:16
	buffer_store_dword v193, off, s[0:3], 0 offset:4
	;; [unrolled: 1-line block ×3, first 2 shown]
	v_add_co_u32_e32 v46, vcc, v42, v115
	v_addc_co_u32_e32 v47, vcc, 0, v43, vcc
	global_load_ushort v206, v[42:43], off
	global_load_dword v207, v[46:47], off offset:2
	v_add_co_u32_e32 v42, vcc, v204, v187
	v_pk_fma_f16 v192, v188, v197, v192
	v_pk_fma_f16 v188, v188, v199, v195
	;; [unrolled: 1-line block ×4, first 2 shown]
	v_addc_co_u32_e32 v43, vcc, v205, v185, vcc
	buffer_store_dword v192, off, s[0:3], 0 offset:8
	buffer_store_dword v188, off, s[0:3], 0 offset:24
	buffer_store_dword v195, off, s[0:3], 0 offset:12
	buffer_store_dword v189, off, s[0:3], 0 offset:28
	v_add_co_u32_e32 v46, vcc, v42, v117
	v_addc_co_u32_e32 v47, vcc, 0, v43, vcc
	global_load_ushort v197, v[42:43], off
	global_load_dword v199, v[46:47], off offset:2
	v_mul_u32_u24_sdwa v194, v44, s47 dst_sel:DWORD dst_unused:UNUSED_PAD src0_sel:WORD_0 src1_sel:DWORD
	v_mul_u32_u24_sdwa v196, v48, s47 dst_sel:DWORD dst_unused:UNUSED_PAD src0_sel:WORD_0 src1_sel:DWORD
	v_mul_u32_u24_sdwa v44, v44, s47 dst_sel:DWORD dst_unused:UNUSED_PAD src0_sel:WORD_1 src1_sel:DWORD
	v_mul_u32_u24_sdwa v48, v48, s47 dst_sel:DWORD dst_unused:UNUSED_PAD src0_sel:WORD_1 src1_sel:DWORD
	s_waitcnt vmcnt(15)
	v_mul_u32_u24_e32 v42, 0x10001, v202
	s_waitcnt vmcnt(14)
	v_pk_lshrrev_b16 v43, 8, v203 op_sel:[1,0] op_sel_hi:[0,0]
	v_lshrrev_b32_e32 v46, 16, v43
	v_cvt_f16_i16_sdwa v43, sext(v43) dst_sel:DWORD dst_unused:UNUSED_PAD src0_sel:BYTE_0
	v_cvt_f16_i16_sdwa v46, sext(v46) dst_sel:DWORD dst_unused:UNUSED_PAD src0_sel:BYTE_0
	v_pack_b32_f16 v43, v43, v46
	v_pk_lshrrev_b16 v46, 8, v203 op_sel:[1,1] op_sel_hi:[0,1]
	v_lshrrev_b32_e32 v47, 16, v46
	v_pk_mul_f16 v43, v43, v42
	v_cvt_f16_i16_sdwa v46, sext(v46) dst_sel:DWORD dst_unused:UNUSED_PAD src0_sel:BYTE_0
	v_cvt_f16_i16_sdwa v47, sext(v47) dst_sel:DWORD dst_unused:UNUSED_PAD src0_sel:BYTE_0
	v_pack_b32_f16 v46, v46, v47
	v_pk_fma_f16 v198, v43, v194, v198
	v_pk_fma_f16 v191, v43, v196, v191
	v_pk_mul_f16 v42, v46, v42
	v_pk_fma_f16 v193, v42, v194, v193
	v_pk_fma_f16 v190, v42, v196, v190
	buffer_store_dword v198, off, s[0:3], 0
	buffer_store_dword v191, off, s[0:3], 0 offset:16
	buffer_store_dword v193, off, s[0:3], 0 offset:4
	s_waitcnt vmcnt(16)
	v_mul_u32_u24_e32 v42, 0x10001, v200
	s_waitcnt vmcnt(15)
	v_pk_lshrrev_b16 v43, 8, v201 op_sel:[1,0] op_sel_hi:[0,0]
	v_lshrrev_b32_e32 v46, 16, v43
	v_cvt_f16_i16_sdwa v43, sext(v43) dst_sel:DWORD dst_unused:UNUSED_PAD src0_sel:BYTE_0
	v_cvt_f16_i16_sdwa v46, sext(v46) dst_sel:DWORD dst_unused:UNUSED_PAD src0_sel:BYTE_0
	v_pack_b32_f16 v43, v43, v46
	v_pk_lshrrev_b16 v46, 8, v201 op_sel:[1,1] op_sel_hi:[0,1]
	v_lshrrev_b32_e32 v47, 16, v46
	v_cvt_f16_i16_sdwa v46, sext(v46) dst_sel:DWORD dst_unused:UNUSED_PAD src0_sel:BYTE_0
	v_cvt_f16_i16_sdwa v47, sext(v47) dst_sel:DWORD dst_unused:UNUSED_PAD src0_sel:BYTE_0
	v_pack_b32_f16 v46, v46, v47
	v_pk_mul_f16 v43, v43, v42
	v_pk_mul_f16 v42, v46, v42
	v_pk_fma_f16 v192, v43, v194, v192
	v_pk_fma_f16 v194, v42, v194, v195
	v_add_co_u32_e32 v195, vcc, s6, v160
	v_pk_fma_f16 v188, v43, v196, v188
	v_pk_fma_f16 v189, v42, v196, v189
	v_addc_co_u32_e32 v196, vcc, v183, v161, vcc
	v_add_co_u32_e32 v42, vcc, v195, v186
	v_addc_co_u32_e32 v43, vcc, v196, v184, vcc
	buffer_store_dword v190, off, s[0:3], 0 offset:20
	buffer_store_dword v192, off, s[0:3], 0 offset:8
	;; [unrolled: 1-line block ×5, first 2 shown]
	v_add_co_u32_e32 v46, vcc, v42, v115
	v_addc_co_u32_e32 v47, vcc, 0, v43, vcc
	global_load_ushort v200, v[42:43], off
	global_load_dword v201, v[46:47], off offset:2
	s_waitcnt vmcnt(17)
	v_mul_u32_u24_e32 v202, 0x10001, v206
	s_waitcnt vmcnt(16)
	v_pk_lshrrev_b16 v42, 8, v207 op_sel:[1,0] op_sel_hi:[0,0]
	v_lshrrev_b32_e32 v43, 16, v42
	v_cvt_f16_i16_sdwa v42, sext(v42) dst_sel:DWORD dst_unused:UNUSED_PAD src0_sel:BYTE_0
	v_cvt_f16_i16_sdwa v43, sext(v43) dst_sel:DWORD dst_unused:UNUSED_PAD src0_sel:BYTE_0
	v_pack_b32_f16 v42, v42, v43
	v_pk_mul_f16 v203, v42, v202
	v_pk_lshrrev_b16 v42, 8, v207 op_sel:[1,1] op_sel_hi:[0,1]
	v_lshrrev_b32_e32 v43, 16, v42
	v_cvt_f16_i16_sdwa v204, sext(v42) dst_sel:DWORD dst_unused:UNUSED_PAD src0_sel:BYTE_0
	v_add_co_u32_e32 v42, vcc, v195, v187
	v_cvt_f16_i16_sdwa v205, sext(v43) dst_sel:DWORD dst_unused:UNUSED_PAD src0_sel:BYTE_0
	v_addc_co_u32_e32 v43, vcc, v196, v185, vcc
	v_add_co_u32_e32 v46, vcc, v42, v117
	v_addc_co_u32_e32 v47, vcc, 0, v43, vcc
	global_load_ushort v195, v[42:43], off
	global_load_dword v196, v[46:47], off offset:2
	s_waitcnt vmcnt(12)
	v_pk_lshrrev_b16 v43, 8, v199 op_sel:[1,0] op_sel_hi:[0,0]
	v_pack_b32_f16 v42, v204, v205
	v_lshrrev_b32_e32 v46, 16, v43
	v_pk_mul_f16 v42, v42, v202
	v_cvt_f16_i16_sdwa v43, sext(v43) dst_sel:DWORD dst_unused:UNUSED_PAD src0_sel:BYTE_0
	v_cvt_f16_i16_sdwa v46, sext(v46) dst_sel:DWORD dst_unused:UNUSED_PAD src0_sel:BYTE_0
	v_pk_fma_f16 v193, v42, v44, v193
	v_pk_fma_f16 v190, v42, v48, v190
	v_mul_u32_u24_e32 v42, 0x10001, v197
	v_pack_b32_f16 v43, v43, v46
	v_pk_mul_f16 v197, v43, v42
	v_pk_lshrrev_b16 v43, 8, v199 op_sel:[1,1] op_sel_hi:[0,1]
	v_lshrrev_b32_e32 v46, 16, v43
	v_cvt_f16_i16_sdwa v43, sext(v43) dst_sel:DWORD dst_unused:UNUSED_PAD src0_sel:BYTE_0
	v_cvt_f16_i16_sdwa v46, sext(v46) dst_sel:DWORD dst_unused:UNUSED_PAD src0_sel:BYTE_0
	v_add_co_u32_e32 v202, vcc, s6, v162
	v_pk_fma_f16 v198, v203, v44, v198
	v_pk_fma_f16 v191, v203, v48, v191
	v_pack_b32_f16 v43, v43, v46
	v_addc_co_u32_e32 v203, vcc, v183, v163, vcc
	v_pk_mul_f16 v199, v43, v42
	v_add_co_u32_e32 v42, vcc, v202, v186
	v_addc_co_u32_e32 v43, vcc, v203, v184, vcc
	buffer_store_dword v198, off, s[0:3], 0
	buffer_store_dword v191, off, s[0:3], 0 offset:16
	buffer_store_dword v193, off, s[0:3], 0 offset:4
	;; [unrolled: 1-line block ×3, first 2 shown]
	v_add_co_u32_e32 v46, vcc, v42, v115
	v_addc_co_u32_e32 v47, vcc, 0, v43, vcc
	global_load_ushort v204, v[42:43], off
	global_load_dword v205, v[46:47], off offset:2
	v_add_co_u32_e32 v42, vcc, v202, v187
	v_pk_fma_f16 v192, v197, v44, v192
	v_pk_fma_f16 v188, v197, v48, v188
	;; [unrolled: 1-line block ×4, first 2 shown]
	v_addc_co_u32_e32 v43, vcc, v203, v185, vcc
	buffer_store_dword v192, off, s[0:3], 0 offset:8
	buffer_store_dword v188, off, s[0:3], 0 offset:24
	;; [unrolled: 1-line block ×4, first 2 shown]
	v_add_co_u32_e32 v46, vcc, v42, v117
	v_addc_co_u32_e32 v47, vcc, 0, v43, vcc
	global_load_ushort v197, v[42:43], off
	s_nop 0
	global_load_dword v46, v[46:47], off offset:2
	v_mul_u32_u24_sdwa v189, v45, s47 dst_sel:DWORD dst_unused:UNUSED_PAD src0_sel:WORD_0 src1_sel:DWORD
	v_mul_u32_u24_sdwa v194, v49, s47 dst_sel:DWORD dst_unused:UNUSED_PAD src0_sel:WORD_0 src1_sel:DWORD
	v_mul_u32_u24_sdwa v49, v49, s47 dst_sel:DWORD dst_unused:UNUSED_PAD src0_sel:WORD_1 src1_sel:DWORD
	s_waitcnt vmcnt(15)
	v_mul_u32_u24_e32 v42, 0x10001, v200
	s_waitcnt vmcnt(14)
	v_pk_lshrrev_b16 v43, 8, v201 op_sel:[1,0] op_sel_hi:[0,0]
	v_lshrrev_b32_e32 v47, 16, v43
	v_cvt_f16_i16_sdwa v43, sext(v43) dst_sel:DWORD dst_unused:UNUSED_PAD src0_sel:BYTE_0
	v_cvt_f16_i16_sdwa v47, sext(v47) dst_sel:DWORD dst_unused:UNUSED_PAD src0_sel:BYTE_0
	v_pack_b32_f16 v43, v43, v47
	v_pk_lshrrev_b16 v47, 8, v201 op_sel:[1,1] op_sel_hi:[0,1]
	v_lshrrev_b32_e32 v199, 16, v47
	v_cvt_f16_i16_sdwa v47, sext(v47) dst_sel:DWORD dst_unused:UNUSED_PAD src0_sel:BYTE_0
	v_cvt_f16_i16_sdwa v199, sext(v199) dst_sel:DWORD dst_unused:UNUSED_PAD src0_sel:BYTE_0
	v_pk_mul_f16 v43, v43, v42
	v_pack_b32_f16 v47, v47, v199
	v_pk_mul_f16 v42, v47, v42
	v_pk_fma_f16 v47, v43, v189, v198
	v_pk_fma_f16 v191, v43, v194, v191
	;; [unrolled: 1-line block ×4, first 2 shown]
	buffer_store_dword v47, off, s[0:3], 0
	buffer_store_dword v191, off, s[0:3], 0 offset:16
	buffer_store_dword v193, off, s[0:3], 0 offset:4
	;; [unrolled: 1-line block ×3, first 2 shown]
	s_waitcnt vmcnt(17)
	v_mul_u32_u24_e32 v42, 0x10001, v195
	s_waitcnt vmcnt(16)
	v_pk_lshrrev_b16 v43, 8, v196 op_sel:[1,0] op_sel_hi:[0,0]
	v_lshrrev_b32_e32 v195, 16, v43
	v_cvt_f16_i16_sdwa v43, sext(v43) dst_sel:DWORD dst_unused:UNUSED_PAD src0_sel:BYTE_0
	v_cvt_f16_i16_sdwa v195, sext(v195) dst_sel:DWORD dst_unused:UNUSED_PAD src0_sel:BYTE_0
	v_pack_b32_f16 v43, v43, v195
	v_pk_lshrrev_b16 v195, 8, v196 op_sel:[1,1] op_sel_hi:[0,1]
	v_lshrrev_b32_e32 v196, 16, v195
	v_cvt_f16_i16_sdwa v195, sext(v195) dst_sel:DWORD dst_unused:UNUSED_PAD src0_sel:BYTE_0
	v_cvt_f16_i16_sdwa v196, sext(v196) dst_sel:DWORD dst_unused:UNUSED_PAD src0_sel:BYTE_0
	v_pack_b32_f16 v195, v195, v196
	v_pk_mul_f16 v43, v43, v42
	v_pk_mul_f16 v42, v195, v42
	v_add_co_u32_e32 v195, vcc, s6, v164
	v_addc_co_u32_e32 v196, vcc, v183, v165, vcc
	v_pk_fma_f16 v192, v43, v189, v192
	v_pk_fma_f16 v189, v42, v189, v44
	;; [unrolled: 1-line block ×3, first 2 shown]
	v_add_co_u32_e32 v42, vcc, v195, v186
	v_pk_fma_f16 v188, v43, v194, v188
	v_addc_co_u32_e32 v43, vcc, v196, v184, vcc
	buffer_store_dword v192, off, s[0:3], 0 offset:8
	buffer_store_dword v188, off, s[0:3], 0 offset:24
	;; [unrolled: 1-line block ×4, first 2 shown]
	v_add_co_u32_e32 v44, vcc, v42, v115
	v_mul_u32_u24_sdwa v194, v45, s47 dst_sel:DWORD dst_unused:UNUSED_PAD src0_sel:WORD_1 src1_sel:DWORD
	v_addc_co_u32_e32 v45, vcc, 0, v43, vcc
	global_load_ushort v198, v[42:43], off
	global_load_dword v199, v[44:45], off offset:2
	s_waitcnt vmcnt(17)
	v_mul_u32_u24_e32 v200, 0x10001, v204
	s_waitcnt vmcnt(16)
	v_pk_lshrrev_b16 v42, 8, v205 op_sel:[1,0] op_sel_hi:[0,0]
	v_lshrrev_b32_e32 v43, 16, v42
	v_cvt_f16_i16_sdwa v42, sext(v42) dst_sel:DWORD dst_unused:UNUSED_PAD src0_sel:BYTE_0
	v_cvt_f16_i16_sdwa v43, sext(v43) dst_sel:DWORD dst_unused:UNUSED_PAD src0_sel:BYTE_0
	v_pack_b32_f16 v42, v42, v43
	v_pk_mul_f16 v201, v42, v200
	v_pk_lshrrev_b16 v42, 8, v205 op_sel:[1,1] op_sel_hi:[0,1]
	v_lshrrev_b32_e32 v43, 16, v42
	v_cvt_f16_i16_sdwa v202, sext(v42) dst_sel:DWORD dst_unused:UNUSED_PAD src0_sel:BYTE_0
	v_add_co_u32_e32 v42, vcc, v195, v187
	v_cvt_f16_i16_sdwa v203, sext(v43) dst_sel:DWORD dst_unused:UNUSED_PAD src0_sel:BYTE_0
	v_addc_co_u32_e32 v43, vcc, v196, v185, vcc
	v_add_co_u32_e32 v44, vcc, v42, v117
	v_addc_co_u32_e32 v45, vcc, 0, v43, vcc
	global_load_ushort v195, v[42:43], off
	global_load_dword v196, v[44:45], off offset:2
	s_waitcnt vmcnt(12)
	v_pk_lshrrev_b16 v43, 8, v46 op_sel:[1,0] op_sel_hi:[0,0]
	v_pack_b32_f16 v42, v202, v203
	v_lshrrev_b32_e32 v44, 16, v43
	v_pk_mul_f16 v42, v42, v200
	v_cvt_f16_i16_sdwa v43, sext(v43) dst_sel:DWORD dst_unused:UNUSED_PAD src0_sel:BYTE_0
	v_cvt_f16_i16_sdwa v44, sext(v44) dst_sel:DWORD dst_unused:UNUSED_PAD src0_sel:BYTE_0
	v_pk_fma_f16 v193, v42, v194, v193
	v_pk_fma_f16 v190, v42, v49, v190
	v_mul_u32_u24_e32 v42, 0x10001, v197
	v_pack_b32_f16 v43, v43, v44
	v_pk_mul_f16 v197, v43, v42
	v_pk_lshrrev_b16 v43, 8, v46 op_sel:[1,1] op_sel_hi:[0,1]
	v_lshrrev_b32_e32 v44, 16, v43
	v_cvt_f16_i16_sdwa v43, sext(v43) dst_sel:DWORD dst_unused:UNUSED_PAD src0_sel:BYTE_0
	v_cvt_f16_i16_sdwa v44, sext(v44) dst_sel:DWORD dst_unused:UNUSED_PAD src0_sel:BYTE_0
	v_add_co_u32_e32 v200, vcc, s6, v166
	v_pk_fma_f16 v47, v201, v194, v47
	v_pk_fma_f16 v191, v201, v49, v191
	v_pack_b32_f16 v43, v43, v44
	v_addc_co_u32_e32 v201, vcc, v183, v167, vcc
	v_pk_mul_f16 v46, v43, v42
	v_add_co_u32_e32 v42, vcc, v200, v186
	v_addc_co_u32_e32 v43, vcc, v201, v184, vcc
	buffer_store_dword v47, off, s[0:3], 0
	buffer_store_dword v191, off, s[0:3], 0 offset:16
	buffer_store_dword v193, off, s[0:3], 0 offset:4
	;; [unrolled: 1-line block ×3, first 2 shown]
	v_add_co_u32_e32 v44, vcc, v42, v115
	v_addc_co_u32_e32 v45, vcc, 0, v43, vcc
	global_load_ushort v202, v[42:43], off
	global_load_dword v203, v[44:45], off offset:2
	v_add_co_u32_e32 v42, vcc, v200, v187
	v_pk_fma_f16 v192, v197, v194, v192
	v_pk_fma_f16 v188, v197, v49, v188
	;; [unrolled: 1-line block ×4, first 2 shown]
	v_addc_co_u32_e32 v43, vcc, v201, v185, vcc
	buffer_store_dword v192, off, s[0:3], 0 offset:8
	buffer_store_dword v188, off, s[0:3], 0 offset:24
	;; [unrolled: 1-line block ×4, first 2 shown]
	v_add_co_u32_e32 v44, vcc, v42, v117
	v_addc_co_u32_e32 v45, vcc, 0, v43, vcc
	global_load_ushort v194, v[42:43], off
	global_load_dword v197, v[44:45], off offset:2
	v_mul_u32_u24_sdwa v48, v34, s47 dst_sel:DWORD dst_unused:UNUSED_PAD src0_sel:WORD_0 src1_sel:DWORD
	s_waitcnt lgkmcnt(0)
	v_mul_u32_u24_sdwa v49, v38, s47 dst_sel:DWORD dst_unused:UNUSED_PAD src0_sel:WORD_0 src1_sel:DWORD
	v_mul_u32_u24_sdwa v34, v34, s47 dst_sel:DWORD dst_unused:UNUSED_PAD src0_sel:WORD_1 src1_sel:DWORD
	v_mul_u32_u24_sdwa v38, v38, s47 dst_sel:DWORD dst_unused:UNUSED_PAD src0_sel:WORD_1 src1_sel:DWORD
	s_waitcnt vmcnt(15)
	v_mul_u32_u24_e32 v42, 0x10001, v198
	s_waitcnt vmcnt(14)
	v_pk_lshrrev_b16 v43, 8, v199 op_sel:[1,0] op_sel_hi:[0,0]
	v_lshrrev_b32_e32 v44, 16, v43
	v_cvt_f16_i16_sdwa v43, sext(v43) dst_sel:DWORD dst_unused:UNUSED_PAD src0_sel:BYTE_0
	v_cvt_f16_i16_sdwa v44, sext(v44) dst_sel:DWORD dst_unused:UNUSED_PAD src0_sel:BYTE_0
	v_pack_b32_f16 v43, v43, v44
	v_pk_lshrrev_b16 v44, 8, v199 op_sel:[1,1] op_sel_hi:[0,1]
	v_lshrrev_b32_e32 v45, 16, v44
	v_pk_mul_f16 v43, v43, v42
	v_cvt_f16_i16_sdwa v44, sext(v44) dst_sel:DWORD dst_unused:UNUSED_PAD src0_sel:BYTE_0
	v_cvt_f16_i16_sdwa v45, sext(v45) dst_sel:DWORD dst_unused:UNUSED_PAD src0_sel:BYTE_0
	v_pack_b32_f16 v44, v44, v45
	v_pk_fma_f16 v47, v43, v48, v47
	v_pk_fma_f16 v191, v43, v49, v191
	v_pk_mul_f16 v42, v44, v42
	v_pk_fma_f16 v193, v42, v48, v193
	v_pk_fma_f16 v190, v42, v49, v190
	buffer_store_dword v47, off, s[0:3], 0
	buffer_store_dword v191, off, s[0:3], 0 offset:16
	buffer_store_dword v193, off, s[0:3], 0 offset:4
	;; [unrolled: 1-line block ×3, first 2 shown]
	s_waitcnt vmcnt(17)
	v_mul_u32_u24_e32 v42, 0x10001, v195
	s_waitcnt vmcnt(16)
	v_pk_lshrrev_b16 v43, 8, v196 op_sel:[1,0] op_sel_hi:[0,0]
	v_lshrrev_b32_e32 v44, 16, v43
	v_cvt_f16_i16_sdwa v43, sext(v43) dst_sel:DWORD dst_unused:UNUSED_PAD src0_sel:BYTE_0
	v_cvt_f16_i16_sdwa v44, sext(v44) dst_sel:DWORD dst_unused:UNUSED_PAD src0_sel:BYTE_0
	v_pack_b32_f16 v43, v43, v44
	v_pk_lshrrev_b16 v44, 8, v196 op_sel:[1,1] op_sel_hi:[0,1]
	v_lshrrev_b32_e32 v45, 16, v44
	v_cvt_f16_i16_sdwa v44, sext(v44) dst_sel:DWORD dst_unused:UNUSED_PAD src0_sel:BYTE_0
	v_cvt_f16_i16_sdwa v45, sext(v45) dst_sel:DWORD dst_unused:UNUSED_PAD src0_sel:BYTE_0
	v_pack_b32_f16 v44, v44, v45
	v_pk_mul_f16 v43, v43, v42
	v_pk_mul_f16 v42, v44, v42
	v_pk_fma_f16 v188, v43, v49, v188
	v_pk_fma_f16 v46, v42, v49, v46
	v_add_co_u32_e32 v49, vcc, s6, v168
	v_pk_fma_f16 v192, v43, v48, v192
	v_pk_fma_f16 v48, v42, v48, v189
	v_addc_co_u32_e32 v189, vcc, v183, v169, vcc
	v_add_co_u32_e32 v42, vcc, v49, v186
	v_addc_co_u32_e32 v43, vcc, v189, v184, vcc
	buffer_store_dword v192, off, s[0:3], 0 offset:8
	buffer_store_dword v188, off, s[0:3], 0 offset:24
	;; [unrolled: 1-line block ×4, first 2 shown]
	v_add_co_u32_e32 v44, vcc, v42, v115
	v_addc_co_u32_e32 v45, vcc, 0, v43, vcc
	global_load_ushort v195, v[42:43], off
	global_load_dword v196, v[44:45], off offset:2
	s_waitcnt vmcnt(17)
	v_mul_u32_u24_e32 v198, 0x10001, v202
	s_waitcnt vmcnt(16)
	v_pk_lshrrev_b16 v42, 8, v203 op_sel:[1,0] op_sel_hi:[0,0]
	v_lshrrev_b32_e32 v43, 16, v42
	v_cvt_f16_i16_sdwa v42, sext(v42) dst_sel:DWORD dst_unused:UNUSED_PAD src0_sel:BYTE_0
	v_cvt_f16_i16_sdwa v43, sext(v43) dst_sel:DWORD dst_unused:UNUSED_PAD src0_sel:BYTE_0
	v_pack_b32_f16 v42, v42, v43
	v_pk_mul_f16 v199, v42, v198
	v_pk_lshrrev_b16 v42, 8, v203 op_sel:[1,1] op_sel_hi:[0,1]
	v_lshrrev_b32_e32 v43, 16, v42
	v_cvt_f16_i16_sdwa v200, sext(v42) dst_sel:DWORD dst_unused:UNUSED_PAD src0_sel:BYTE_0
	v_add_co_u32_e32 v42, vcc, v49, v187
	v_cvt_f16_i16_sdwa v201, sext(v43) dst_sel:DWORD dst_unused:UNUSED_PAD src0_sel:BYTE_0
	v_addc_co_u32_e32 v43, vcc, v189, v185, vcc
	v_add_co_u32_e32 v44, vcc, v42, v117
	v_addc_co_u32_e32 v45, vcc, 0, v43, vcc
	global_load_ushort v49, v[42:43], off
	global_load_dword v189, v[44:45], off offset:2
	s_waitcnt vmcnt(12)
	v_pk_lshrrev_b16 v43, 8, v197 op_sel:[1,0] op_sel_hi:[0,0]
	v_pack_b32_f16 v42, v200, v201
	v_lshrrev_b32_e32 v44, 16, v43
	v_pk_mul_f16 v42, v42, v198
	v_cvt_f16_i16_sdwa v43, sext(v43) dst_sel:DWORD dst_unused:UNUSED_PAD src0_sel:BYTE_0
	v_cvt_f16_i16_sdwa v44, sext(v44) dst_sel:DWORD dst_unused:UNUSED_PAD src0_sel:BYTE_0
	v_pk_fma_f16 v193, v42, v34, v193
	v_pk_fma_f16 v190, v42, v38, v190
	v_mul_u32_u24_e32 v42, 0x10001, v194
	v_pack_b32_f16 v43, v43, v44
	v_pk_mul_f16 v194, v43, v42
	v_pk_lshrrev_b16 v43, 8, v197 op_sel:[1,1] op_sel_hi:[0,1]
	v_lshrrev_b32_e32 v44, 16, v43
	v_cvt_f16_i16_sdwa v43, sext(v43) dst_sel:DWORD dst_unused:UNUSED_PAD src0_sel:BYTE_0
	v_cvt_f16_i16_sdwa v44, sext(v44) dst_sel:DWORD dst_unused:UNUSED_PAD src0_sel:BYTE_0
	v_add_co_u32_e32 v198, vcc, s6, v170
	v_pk_fma_f16 v47, v199, v34, v47
	v_pk_fma_f16 v191, v199, v38, v191
	v_pack_b32_f16 v43, v43, v44
	v_addc_co_u32_e32 v199, vcc, v183, v171, vcc
	v_pk_mul_f16 v197, v43, v42
	v_add_co_u32_e32 v42, vcc, v198, v186
	v_addc_co_u32_e32 v43, vcc, v199, v184, vcc
	buffer_store_dword v47, off, s[0:3], 0
	buffer_store_dword v191, off, s[0:3], 0 offset:16
	buffer_store_dword v193, off, s[0:3], 0 offset:4
	;; [unrolled: 1-line block ×3, first 2 shown]
	v_add_co_u32_e32 v44, vcc, v42, v115
	v_addc_co_u32_e32 v45, vcc, 0, v43, vcc
	global_load_ushort v200, v[42:43], off
	global_load_dword v201, v[44:45], off offset:2
	v_add_co_u32_e32 v42, vcc, v198, v187
	v_pk_fma_f16 v192, v194, v34, v192
	v_pk_fma_f16 v188, v194, v38, v188
	;; [unrolled: 1-line block ×4, first 2 shown]
	v_addc_co_u32_e32 v43, vcc, v199, v185, vcc
	buffer_store_dword v192, off, s[0:3], 0 offset:8
	buffer_store_dword v188, off, s[0:3], 0 offset:24
	;; [unrolled: 1-line block ×4, first 2 shown]
	v_add_co_u32_e32 v44, vcc, v42, v117
	v_addc_co_u32_e32 v45, vcc, 0, v43, vcc
	global_load_ushort v42, v[42:43], off
	s_nop 0
	global_load_dword v43, v[44:45], off offset:2
	v_mul_u32_u24_sdwa v46, v35, s47 dst_sel:DWORD dst_unused:UNUSED_PAD src0_sel:WORD_0 src1_sel:DWORD
	v_mul_u32_u24_sdwa v48, v39, s47 dst_sel:DWORD dst_unused:UNUSED_PAD src0_sel:WORD_0 src1_sel:DWORD
	s_waitcnt vmcnt(15)
	v_mul_u32_u24_e32 v44, 0x10001, v195
	s_waitcnt vmcnt(14)
	v_pk_lshrrev_b16 v45, 8, v196 op_sel:[1,0] op_sel_hi:[0,0]
	v_lshrrev_b32_e32 v194, 16, v45
	v_cvt_f16_i16_sdwa v45, sext(v45) dst_sel:DWORD dst_unused:UNUSED_PAD src0_sel:BYTE_0
	v_cvt_f16_i16_sdwa v194, sext(v194) dst_sel:DWORD dst_unused:UNUSED_PAD src0_sel:BYTE_0
	v_pack_b32_f16 v45, v45, v194
	v_pk_lshrrev_b16 v194, 8, v196 op_sel:[1,1] op_sel_hi:[0,1]
	v_lshrrev_b32_e32 v195, 16, v194
	v_cvt_f16_i16_sdwa v194, sext(v194) dst_sel:DWORD dst_unused:UNUSED_PAD src0_sel:BYTE_0
	v_cvt_f16_i16_sdwa v195, sext(v195) dst_sel:DWORD dst_unused:UNUSED_PAD src0_sel:BYTE_0
	v_pack_b32_f16 v194, v194, v195
	v_pk_mul_f16 v45, v45, v44
	v_pk_mul_f16 v44, v194, v44
	v_pk_fma_f16 v47, v45, v46, v47
	v_pk_fma_f16 v45, v45, v48, v191
	;; [unrolled: 1-line block ×4, first 2 shown]
	buffer_store_dword v47, off, s[0:3], 0
	buffer_store_dword v45, off, s[0:3], 0 offset:16
	buffer_store_dword v191, off, s[0:3], 0 offset:4
	;; [unrolled: 1-line block ×3, first 2 shown]
	s_waitcnt vmcnt(17)
	v_mul_u32_u24_e32 v49, 0x10001, v49
	s_waitcnt vmcnt(16)
	v_pk_lshrrev_b16 v190, 8, v189 op_sel:[1,0] op_sel_hi:[0,0]
	v_lshrrev_b32_e32 v193, 16, v190
	v_cvt_f16_i16_sdwa v190, sext(v190) dst_sel:DWORD dst_unused:UNUSED_PAD src0_sel:BYTE_0
	v_cvt_f16_i16_sdwa v193, sext(v193) dst_sel:DWORD dst_unused:UNUSED_PAD src0_sel:BYTE_0
	v_pk_lshrrev_b16 v189, 8, v189 op_sel:[1,1] op_sel_hi:[0,1]
	v_pack_b32_f16 v190, v190, v193
	v_lshrrev_b32_e32 v193, 16, v189
	v_cvt_f16_i16_sdwa v189, sext(v189) dst_sel:DWORD dst_unused:UNUSED_PAD src0_sel:BYTE_0
	v_cvt_f16_i16_sdwa v193, sext(v193) dst_sel:DWORD dst_unused:UNUSED_PAD src0_sel:BYTE_0
	v_pk_mul_f16 v190, v190, v49
	v_pack_b32_f16 v189, v189, v193
	v_pk_mul_f16 v49, v189, v49
	v_pk_fma_f16 v189, v190, v46, v192
	v_add_co_u32_e32 v192, vcc, s6, v172
	v_addc_co_u32_e32 v193, vcc, v183, v173, vcc
	v_pk_fma_f16 v46, v49, v46, v34
	v_add_co_u32_e32 v34, vcc, v192, v186
	v_pk_fma_f16 v188, v190, v48, v188
	v_pk_fma_f16 v48, v49, v48, v38
	v_mul_u32_u24_sdwa v49, v35, s47 dst_sel:DWORD dst_unused:UNUSED_PAD src0_sel:WORD_1 src1_sel:DWORD
	v_addc_co_u32_e32 v35, vcc, v193, v184, vcc
	buffer_store_dword v189, off, s[0:3], 0 offset:8
	buffer_store_dword v188, off, s[0:3], 0 offset:24
	;; [unrolled: 1-line block ×4, first 2 shown]
	v_add_co_u32_e32 v38, vcc, v34, v115
	v_mul_u32_u24_sdwa v190, v39, s47 dst_sel:DWORD dst_unused:UNUSED_PAD src0_sel:WORD_1 src1_sel:DWORD
	v_addc_co_u32_e32 v39, vcc, 0, v35, vcc
	global_load_ushort v194, v[34:35], off
	global_load_dword v195, v[38:39], off offset:2
	s_waitcnt vmcnt(17)
	v_mul_u32_u24_e32 v196, 0x10001, v200
	s_waitcnt vmcnt(16)
	v_pk_lshrrev_b16 v34, 8, v201 op_sel:[1,0] op_sel_hi:[0,0]
	v_lshrrev_b32_e32 v35, 16, v34
	v_cvt_f16_i16_sdwa v34, sext(v34) dst_sel:DWORD dst_unused:UNUSED_PAD src0_sel:BYTE_0
	v_cvt_f16_i16_sdwa v35, sext(v35) dst_sel:DWORD dst_unused:UNUSED_PAD src0_sel:BYTE_0
	v_pack_b32_f16 v34, v34, v35
	v_pk_mul_f16 v197, v34, v196
	v_pk_lshrrev_b16 v34, 8, v201 op_sel:[1,1] op_sel_hi:[0,1]
	v_lshrrev_b32_e32 v35, 16, v34
	v_cvt_f16_i16_sdwa v198, sext(v34) dst_sel:DWORD dst_unused:UNUSED_PAD src0_sel:BYTE_0
	v_add_co_u32_e32 v34, vcc, v192, v187
	v_cvt_f16_i16_sdwa v199, sext(v35) dst_sel:DWORD dst_unused:UNUSED_PAD src0_sel:BYTE_0
	v_addc_co_u32_e32 v35, vcc, v193, v185, vcc
	v_add_co_u32_e32 v38, vcc, v34, v117
	v_addc_co_u32_e32 v39, vcc, 0, v35, vcc
	global_load_ushort v192, v[34:35], off
	global_load_dword v193, v[38:39], off offset:2
	s_waitcnt vmcnt(12)
	v_pk_lshrrev_b16 v35, 8, v43 op_sel:[1,0] op_sel_hi:[0,0]
	v_pack_b32_f16 v34, v198, v199
	v_lshrrev_b32_e32 v38, 16, v35
	v_pk_mul_f16 v34, v34, v196
	v_cvt_f16_i16_sdwa v35, sext(v35) dst_sel:DWORD dst_unused:UNUSED_PAD src0_sel:BYTE_0
	v_cvt_f16_i16_sdwa v38, sext(v38) dst_sel:DWORD dst_unused:UNUSED_PAD src0_sel:BYTE_0
	v_pk_fma_f16 v191, v34, v49, v191
	v_pk_fma_f16 v44, v34, v190, v44
	v_mul_u32_u24_e32 v34, 0x10001, v42
	v_pack_b32_f16 v35, v35, v38
	v_pk_mul_f16 v42, v35, v34
	v_pk_lshrrev_b16 v35, 8, v43 op_sel:[1,1] op_sel_hi:[0,1]
	v_lshrrev_b32_e32 v38, 16, v35
	v_cvt_f16_i16_sdwa v35, sext(v35) dst_sel:DWORD dst_unused:UNUSED_PAD src0_sel:BYTE_0
	v_cvt_f16_i16_sdwa v38, sext(v38) dst_sel:DWORD dst_unused:UNUSED_PAD src0_sel:BYTE_0
	v_add_co_u32_e32 v196, vcc, s6, v174
	v_pk_fma_f16 v47, v197, v49, v47
	v_pk_fma_f16 v45, v197, v190, v45
	v_pack_b32_f16 v35, v35, v38
	v_addc_co_u32_e32 v197, vcc, v183, v175, vcc
	v_pk_mul_f16 v43, v35, v34
	v_add_co_u32_e32 v34, vcc, v196, v186
	v_addc_co_u32_e32 v35, vcc, v197, v184, vcc
	buffer_store_dword v47, off, s[0:3], 0
	buffer_store_dword v45, off, s[0:3], 0 offset:16
	buffer_store_dword v191, off, s[0:3], 0 offset:4
	;; [unrolled: 1-line block ×3, first 2 shown]
	v_add_co_u32_e32 v38, vcc, v34, v115
	v_addc_co_u32_e32 v39, vcc, 0, v35, vcc
	global_load_ushort v198, v[34:35], off
	global_load_dword v199, v[38:39], off offset:2
	v_add_co_u32_e32 v34, vcc, v196, v187
	v_pk_fma_f16 v189, v42, v49, v189
	v_pk_fma_f16 v42, v42, v190, v188
	;; [unrolled: 1-line block ×4, first 2 shown]
	v_addc_co_u32_e32 v35, vcc, v197, v185, vcc
	buffer_store_dword v189, off, s[0:3], 0 offset:8
	buffer_store_dword v42, off, s[0:3], 0 offset:24
	;; [unrolled: 1-line block ×4, first 2 shown]
	v_add_co_u32_e32 v38, vcc, v34, v117
	v_addc_co_u32_e32 v39, vcc, 0, v35, vcc
	global_load_ushort v188, v[34:35], off
	global_load_dword v190, v[38:39], off offset:2
	v_mul_u32_u24_sdwa v48, v36, s47 dst_sel:DWORD dst_unused:UNUSED_PAD src0_sel:WORD_0 src1_sel:DWORD
	v_mul_u32_u24_sdwa v49, v40, s47 dst_sel:DWORD dst_unused:UNUSED_PAD src0_sel:WORD_0 src1_sel:DWORD
	v_mul_u32_u24_sdwa v36, v36, s47 dst_sel:DWORD dst_unused:UNUSED_PAD src0_sel:WORD_1 src1_sel:DWORD
	v_mul_u32_u24_sdwa v40, v40, s47 dst_sel:DWORD dst_unused:UNUSED_PAD src0_sel:WORD_1 src1_sel:DWORD
	s_waitcnt vmcnt(15)
	v_mul_u32_u24_e32 v34, 0x10001, v194
	s_waitcnt vmcnt(14)
	v_pk_lshrrev_b16 v35, 8, v195 op_sel:[1,0] op_sel_hi:[0,0]
	v_lshrrev_b32_e32 v38, 16, v35
	v_cvt_f16_i16_sdwa v35, sext(v35) dst_sel:DWORD dst_unused:UNUSED_PAD src0_sel:BYTE_0
	v_cvt_f16_i16_sdwa v38, sext(v38) dst_sel:DWORD dst_unused:UNUSED_PAD src0_sel:BYTE_0
	v_pack_b32_f16 v35, v35, v38
	v_pk_lshrrev_b16 v38, 8, v195 op_sel:[1,1] op_sel_hi:[0,1]
	v_lshrrev_b32_e32 v39, 16, v38
	v_pk_mul_f16 v35, v35, v34
	v_cvt_f16_i16_sdwa v38, sext(v38) dst_sel:DWORD dst_unused:UNUSED_PAD src0_sel:BYTE_0
	v_cvt_f16_i16_sdwa v39, sext(v39) dst_sel:DWORD dst_unused:UNUSED_PAD src0_sel:BYTE_0
	v_pack_b32_f16 v38, v38, v39
	v_pk_fma_f16 v47, v35, v48, v47
	v_pk_fma_f16 v45, v35, v49, v45
	v_pk_mul_f16 v34, v38, v34
	v_pk_fma_f16 v191, v34, v48, v191
	v_pk_fma_f16 v44, v34, v49, v44
	buffer_store_dword v47, off, s[0:3], 0
	buffer_store_dword v45, off, s[0:3], 0 offset:16
	buffer_store_dword v191, off, s[0:3], 0 offset:4
	s_waitcnt vmcnt(16)
	v_mul_u32_u24_e32 v34, 0x10001, v192
	s_waitcnt vmcnt(15)
	v_pk_lshrrev_b16 v35, 8, v193 op_sel:[1,0] op_sel_hi:[0,0]
	v_lshrrev_b32_e32 v38, 16, v35
	v_cvt_f16_i16_sdwa v35, sext(v35) dst_sel:DWORD dst_unused:UNUSED_PAD src0_sel:BYTE_0
	v_cvt_f16_i16_sdwa v38, sext(v38) dst_sel:DWORD dst_unused:UNUSED_PAD src0_sel:BYTE_0
	v_pack_b32_f16 v35, v35, v38
	v_pk_lshrrev_b16 v38, 8, v193 op_sel:[1,1] op_sel_hi:[0,1]
	v_lshrrev_b32_e32 v39, 16, v38
	v_cvt_f16_i16_sdwa v38, sext(v38) dst_sel:DWORD dst_unused:UNUSED_PAD src0_sel:BYTE_0
	v_cvt_f16_i16_sdwa v39, sext(v39) dst_sel:DWORD dst_unused:UNUSED_PAD src0_sel:BYTE_0
	v_pack_b32_f16 v38, v38, v39
	v_pk_mul_f16 v35, v35, v34
	v_pk_mul_f16 v34, v38, v34
	v_pk_fma_f16 v189, v35, v48, v189
	v_pk_fma_f16 v46, v34, v48, v46
	v_add_co_u32_e32 v48, vcc, s6, v176
	v_pk_fma_f16 v42, v35, v49, v42
	v_pk_fma_f16 v43, v34, v49, v43
	v_addc_co_u32_e32 v49, vcc, v183, v177, vcc
	v_add_co_u32_e32 v34, vcc, v48, v186
	v_addc_co_u32_e32 v35, vcc, v49, v184, vcc
	buffer_store_dword v44, off, s[0:3], 0 offset:20
	buffer_store_dword v189, off, s[0:3], 0 offset:8
	;; [unrolled: 1-line block ×5, first 2 shown]
	v_add_co_u32_e32 v38, vcc, v34, v115
	v_addc_co_u32_e32 v39, vcc, 0, v35, vcc
	global_load_ushort v192, v[34:35], off
	global_load_dword v193, v[38:39], off offset:2
	s_waitcnt vmcnt(17)
	v_mul_u32_u24_e32 v194, 0x10001, v198
	s_waitcnt vmcnt(16)
	v_pk_lshrrev_b16 v34, 8, v199 op_sel:[1,0] op_sel_hi:[0,0]
	v_lshrrev_b32_e32 v35, 16, v34
	v_cvt_f16_i16_sdwa v34, sext(v34) dst_sel:DWORD dst_unused:UNUSED_PAD src0_sel:BYTE_0
	v_cvt_f16_i16_sdwa v35, sext(v35) dst_sel:DWORD dst_unused:UNUSED_PAD src0_sel:BYTE_0
	v_pack_b32_f16 v34, v34, v35
	v_pk_mul_f16 v195, v34, v194
	v_pk_lshrrev_b16 v34, 8, v199 op_sel:[1,1] op_sel_hi:[0,1]
	v_lshrrev_b32_e32 v35, 16, v34
	v_cvt_f16_i16_sdwa v196, sext(v34) dst_sel:DWORD dst_unused:UNUSED_PAD src0_sel:BYTE_0
	v_add_co_u32_e32 v34, vcc, v48, v187
	v_cvt_f16_i16_sdwa v197, sext(v35) dst_sel:DWORD dst_unused:UNUSED_PAD src0_sel:BYTE_0
	v_addc_co_u32_e32 v35, vcc, v49, v185, vcc
	v_add_co_u32_e32 v38, vcc, v34, v117
	v_addc_co_u32_e32 v39, vcc, 0, v35, vcc
	global_load_ushort v48, v[34:35], off
	global_load_dword v49, v[38:39], off offset:2
	v_pack_b32_f16 v34, v196, v197
	v_pk_mul_f16 v34, v34, v194
	v_add_co_u32_e32 v194, vcc, s6, v178
	v_addc_co_u32_e32 v183, vcc, v183, v179, vcc
	v_pk_fma_f16 v191, v34, v36, v191
	v_pk_fma_f16 v44, v34, v40, v44
	v_add_co_u32_e32 v34, vcc, v194, v186
	v_pk_fma_f16 v47, v195, v36, v47
	v_pk_fma_f16 v45, v195, v40, v45
	v_addc_co_u32_e32 v35, vcc, v183, v184, vcc
	buffer_store_dword v47, off, s[0:3], 0
	buffer_store_dword v45, off, s[0:3], 0 offset:16
	buffer_store_dword v191, off, s[0:3], 0 offset:4
	v_add_co_u32_e32 v38, vcc, v34, v115
	v_addc_co_u32_e32 v39, vcc, 0, v35, vcc
	global_load_ushort v184, v[34:35], off
	global_load_dword v186, v[38:39], off offset:2
	s_waitcnt vmcnt(17)
	v_pk_lshrrev_b16 v34, 8, v190 op_sel:[1,0] op_sel_hi:[0,0]
	v_lshrrev_b32_e32 v35, 16, v34
	v_cvt_f16_i16_sdwa v34, sext(v34) dst_sel:DWORD dst_unused:UNUSED_PAD src0_sel:BYTE_0
	v_cvt_f16_i16_sdwa v35, sext(v35) dst_sel:DWORD dst_unused:UNUSED_PAD src0_sel:BYTE_0
	v_mul_u32_u24_e32 v188, 0x10001, v188
	v_pack_b32_f16 v34, v34, v35
	v_pk_mul_f16 v195, v34, v188
	v_pk_lshrrev_b16 v34, 8, v190 op_sel:[1,1] op_sel_hi:[0,1]
	v_lshrrev_b32_e32 v190, 16, v34
	v_cvt_f16_i16_sdwa v196, sext(v34) dst_sel:DWORD dst_unused:UNUSED_PAD src0_sel:BYTE_0
	v_add_co_u32_e32 v34, vcc, v194, v187
	v_addc_co_u32_e32 v35, vcc, v183, v185, vcc
	buffer_store_dword v44, off, s[0:3], 0 offset:20
	v_add_co_u32_e32 v38, vcc, v34, v117
	v_addc_co_u32_e32 v39, vcc, 0, v35, vcc
	global_load_ushort v34, v[34:35], off
	s_nop 0
	global_load_dword v35, v[38:39], off offset:2
	v_cvt_f16_i16_sdwa v38, sext(v190) dst_sel:DWORD dst_unused:UNUSED_PAD src0_sel:BYTE_0
	v_pack_b32_f16 v38, v196, v38
	v_pk_mul_f16 v38, v38, v188
	v_pk_fma_f16 v39, v195, v36, v189
	v_pk_fma_f16 v36, v38, v36, v46
	;; [unrolled: 1-line block ×4, first 2 shown]
	v_mul_u32_u24_sdwa v40, v37, s47 dst_sel:DWORD dst_unused:UNUSED_PAD src0_sel:WORD_0 src1_sel:DWORD
	v_mul_u32_u24_sdwa v43, v41, s47 dst_sel:DWORD dst_unused:UNUSED_PAD src0_sel:WORD_0 src1_sel:DWORD
	buffer_store_dword v42, off, s[0:3], 0 offset:24
	buffer_store_dword v38, off, s[0:3], 0 offset:28
	buffer_store_dword v36, off, s[0:3], 0 offset:12
	buffer_store_dword v39, off, s[0:3], 0 offset:8
	v_mul_u32_u24_sdwa v37, v37, s47 dst_sel:DWORD dst_unused:UNUSED_PAD src0_sel:WORD_1 src1_sel:DWORD
	s_add_u32 s6, s6, s41
	s_waitcnt vmcnt(15)
	v_mul_u32_u24_e32 v46, 0x10001, v192
	s_waitcnt vmcnt(14)
	v_pk_lshrrev_b16 v183, 8, v193 op_sel:[1,0] op_sel_hi:[0,0]
	v_lshrrev_b32_e32 v185, 16, v183
	v_cvt_f16_i16_sdwa v183, sext(v183) dst_sel:DWORD dst_unused:UNUSED_PAD src0_sel:BYTE_0
	v_cvt_f16_i16_sdwa v185, sext(v185) dst_sel:DWORD dst_unused:UNUSED_PAD src0_sel:BYTE_0
	v_pack_b32_f16 v183, v183, v185
	v_pk_lshrrev_b16 v185, 8, v193 op_sel:[1,1] op_sel_hi:[0,1]
	v_lshrrev_b32_e32 v187, 16, v185
	v_cvt_f16_i16_sdwa v185, sext(v185) dst_sel:DWORD dst_unused:UNUSED_PAD src0_sel:BYTE_0
	v_cvt_f16_i16_sdwa v187, sext(v187) dst_sel:DWORD dst_unused:UNUSED_PAD src0_sel:BYTE_0
	v_pack_b32_f16 v185, v185, v187
	v_pk_mul_f16 v183, v183, v46
	v_pk_mul_f16 v46, v185, v46
	v_pk_fma_f16 v47, v183, v40, v47
	v_pk_fma_f16 v45, v183, v43, v45
	;; [unrolled: 1-line block ×4, first 2 shown]
	buffer_store_dword v45, off, s[0:3], 0 offset:16
	buffer_store_dword v44, off, s[0:3], 0 offset:20
	;; [unrolled: 1-line block ×3, first 2 shown]
	s_addc_u32 s27, s27, 0
	s_waitcnt vmcnt(16)
	v_mul_u32_u24_e32 v46, 0x10001, v48
	s_waitcnt vmcnt(15)
	v_pk_lshrrev_b16 v48, 8, v49 op_sel:[1,0] op_sel_hi:[0,0]
	v_lshrrev_b32_e32 v185, 16, v48
	v_cvt_f16_i16_sdwa v48, sext(v48) dst_sel:DWORD dst_unused:UNUSED_PAD src0_sel:BYTE_0
	v_cvt_f16_i16_sdwa v185, sext(v185) dst_sel:DWORD dst_unused:UNUSED_PAD src0_sel:BYTE_0
	v_pk_lshrrev_b16 v49, 8, v49 op_sel:[1,1] op_sel_hi:[0,1]
	v_pack_b32_f16 v48, v48, v185
	v_lshrrev_b32_e32 v185, 16, v49
	v_cvt_f16_i16_sdwa v49, sext(v49) dst_sel:DWORD dst_unused:UNUSED_PAD src0_sel:BYTE_0
	v_cvt_f16_i16_sdwa v185, sext(v185) dst_sel:DWORD dst_unused:UNUSED_PAD src0_sel:BYTE_0
	v_pack_b32_f16 v49, v49, v185
	v_pk_mul_f16 v48, v48, v46
	v_pk_mul_f16 v46, v49, v46
	v_pk_fma_f16 v42, v48, v43, v42
	v_pk_fma_f16 v38, v46, v43, v38
	;; [unrolled: 1-line block ×4, first 2 shown]
	v_mul_u32_u24_sdwa v40, v41, s47 dst_sel:DWORD dst_unused:UNUSED_PAD src0_sel:WORD_1 src1_sel:DWORD
	s_lshl_b64 s[16:17], s[28:29], 1
	s_add_u32 s30, s30, s16
	buffer_store_dword v39, off, s[0:3], 0 offset:8
	s_addc_u32 s31, s31, s17
	s_waitcnt vmcnt(12)
	v_mul_u32_u24_e32 v41, 0x10001, v184
	s_waitcnt vmcnt(11)
	v_pk_lshrrev_b16 v43, 8, v186 op_sel:[1,0] op_sel_hi:[0,0]
	v_lshrrev_b32_e32 v46, 16, v43
	v_cvt_f16_i16_sdwa v43, sext(v43) dst_sel:DWORD dst_unused:UNUSED_PAD src0_sel:BYTE_0
	v_cvt_f16_i16_sdwa v46, sext(v46) dst_sel:DWORD dst_unused:UNUSED_PAD src0_sel:BYTE_0
	v_pack_b32_f16 v43, v43, v46
	v_pk_lshrrev_b16 v46, 8, v186 op_sel:[1,1] op_sel_hi:[0,1]
	v_lshrrev_b32_e32 v48, 16, v46
	v_cvt_f16_i16_sdwa v46, sext(v46) dst_sel:DWORD dst_unused:UNUSED_PAD src0_sel:BYTE_0
	v_cvt_f16_i16_sdwa v48, sext(v48) dst_sel:DWORD dst_unused:UNUSED_PAD src0_sel:BYTE_0
	v_pk_mul_f16 v43, v43, v41
	v_pack_b32_f16 v46, v46, v48
	v_pk_mul_f16 v41, v46, v41
	v_pk_fma_f16 v46, v43, v37, v47
	v_pk_fma_f16 v43, v43, v40, v45
	buffer_store_dword v43, off, s[0:3], 0 offset:16
	v_pk_fma_f16 v43, v41, v37, v183
	v_pk_fma_f16 v41, v41, v40, v44
	buffer_store_dword v41, off, s[0:3], 0 offset:20
	buffer_store_dword v43, off, s[0:3], 0 offset:4
	s_waitcnt vmcnt(12)
	v_mul_u32_u24_e32 v34, 0x10001, v34
	s_waitcnt vmcnt(11)
	v_pk_lshrrev_b16 v41, 8, v35 op_sel:[1,0] op_sel_hi:[0,0]
	v_lshrrev_b32_e32 v43, 16, v41
	v_cvt_f16_i16_sdwa v41, sext(v41) dst_sel:DWORD dst_unused:UNUSED_PAD src0_sel:BYTE_0
	v_cvt_f16_i16_sdwa v43, sext(v43) dst_sel:DWORD dst_unused:UNUSED_PAD src0_sel:BYTE_0
	v_pk_lshrrev_b16 v35, 8, v35 op_sel:[1,1] op_sel_hi:[0,1]
	v_pack_b32_f16 v41, v41, v43
	v_lshrrev_b32_e32 v43, 16, v35
	v_cvt_f16_i16_sdwa v35, sext(v35) dst_sel:DWORD dst_unused:UNUSED_PAD src0_sel:BYTE_0
	v_cvt_f16_i16_sdwa v43, sext(v43) dst_sel:DWORD dst_unused:UNUSED_PAD src0_sel:BYTE_0
	v_pk_mul_f16 v41, v41, v34
	v_pack_b32_f16 v35, v35, v43
	v_pk_mul_f16 v34, v35, v34
	v_pk_fma_f16 v35, v41, v37, v39
	buffer_store_dword v35, off, s[0:3], 0 offset:8
	v_pk_fma_f16 v35, v41, v40, v42
	buffer_store_dword v42, off, s[0:3], 0 offset:24
	buffer_store_dword v35, off, s[0:3], 0 offset:24
	v_pk_fma_f16 v35, v34, v37, v36
	v_pk_fma_f16 v34, v34, v40, v38
	s_cmp_ge_i32 s26, s25
	buffer_store_dword v47, off, s[0:3], 0
	buffer_store_dword v36, off, s[0:3], 0 offset:12
	buffer_store_dword v38, off, s[0:3], 0 offset:28
	buffer_store_dword v46, off, s[0:3], 0
	buffer_store_dword v35, off, s[0:3], 0 offset:12
	buffer_store_dword v34, off, s[0:3], 0 offset:28
	s_cbranch_scc1 .LBB28_40
; %bb.38:                               ;   in Loop: Header=BB28_21 Depth=1
	v_mov_b32_e32 v35, v86
	v_mov_b32_e32 v34, v87
	s_branch .LBB28_21
.LBB28_39:
	v_mov_b32_e32 v86, 0xfeffffff
	v_mov_b32_e32 v93, 0
	;; [unrolled: 1-line block ×4, first 2 shown]
.LBB28_40:
	s_cmp_eq_u64 s[44:45], 0
	s_cselect_b64 s[8:9], -1, 0
	s_cmp_lg_u32 s7, 0
	s_cselect_b64 s[10:11], -1, 0
	s_or_b64 s[8:9], s[10:11], s[8:9]
	s_nor_b64 s[8:9], s[8:9], s[20:21]
	s_and_saveexec_b64 s[12:13], s[8:9]
	s_cbranch_execz .LBB28_42
; %bb.41:
	s_ashr_i32 s25, s24, 31
	s_lshl_b64 s[8:9], s[24:25], 2
	s_add_u32 s8, s44, s8
	s_addc_u32 s9, s45, s9
	v_mov_b32_e32 v2, 0
	global_load_dword v2, v2, s[8:9]
	v_mov_b32_e32 v3, 0
	v_lshl_add_u32 v3, v1, 4, v3
	buffer_load_dword v4, v3, s[0:3], 0 offen
	buffer_load_dword v5, v3, s[0:3], 0 offen offset:4
	buffer_load_dword v6, v3, s[0:3], 0 offen offset:8
	;; [unrolled: 1-line block ×3, first 2 shown]
	v_cmp_eq_u32_e32 vcc, 1, v1
	v_cndmask_b32_e32 v8, v86, v87, vcc
	v_max_f32_e32 v10, v8, v8
	s_mov_b32 s6, 0x3fb8aa3b
	s_mov_b32 s14, 0xc2ce8ed0
	v_cmp_eq_u32_e64 s[8:9], 0, v1
	s_mov_b32 s15, 0x42b17218
	v_mov_b32_e32 v9, 0x7f800000
	v_cndmask_b32_e32 v11, v93, v94, vcc
	s_waitcnt vmcnt(4)
	v_max_f32_e32 v12, v2, v2
	v_max_f32_e32 v10, v12, v10
	v_sub_f32_e32 v8, v8, v10
	v_sub_f32_e32 v2, v2, v10
	v_mul_f32_e32 v12, 0x3fb8aa3b, v8
	v_mul_f32_e32 v13, 0x3fb8aa3b, v2
	v_fma_f32 v14, v8, s6, -v12
	v_rndne_f32_e32 v15, v12
	v_fma_f32 v16, v2, s6, -v13
	v_rndne_f32_e32 v17, v13
	v_fmac_f32_e32 v14, 0x32a5705f, v8
	v_sub_f32_e32 v12, v12, v15
	v_fmac_f32_e32 v16, 0x32a5705f, v2
	v_sub_f32_e32 v13, v13, v17
	v_add_f32_e32 v12, v12, v14
	v_cvt_i32_f32_e32 v15, v15
	v_add_f32_e32 v13, v13, v16
	v_exp_f32_e32 v12, v12
	v_cvt_i32_f32_e32 v17, v17
	v_exp_f32_e32 v13, v13
	v_cndmask_b32_e32 v87, v87, v10, vcc
	v_cndmask_b32_e64 v86, v86, v10, s[8:9]
	v_ldexp_f32 v10, v12, v15
	v_cmp_ngt_f32_e64 s[10:11], s14, v8
	v_ldexp_f32 v12, v13, v17
	v_cndmask_b32_e64 v10, 0, v10, s[10:11]
	v_cmp_ngt_f32_e64 s[10:11], s14, v2
	v_cndmask_b32_e64 v12, 0, v12, s[10:11]
	v_cmp_nlt_f32_e64 s[10:11], s15, v8
	v_cndmask_b32_e64 v8, v9, v10, s[10:11]
	v_cmp_nlt_f32_e64 s[10:11], s15, v2
	v_cndmask_b32_e64 v2, v9, v12, s[10:11]
	v_cvt_f16_f32_e32 v9, v8
	v_cmp_eq_u32_e64 s[10:11], 0, v0
	v_cndmask_b32_e64 v2, 0, v2, s[10:11]
	v_fmac_f32_e32 v2, v11, v8
	v_cndmask_b32_e32 v94, v94, v2, vcc
	v_cndmask_b32_e64 v93, v93, v2, s[8:9]
	v_mul_u32_u24_e32 v2, 0x10001, v9
	s_waitcnt vmcnt(3)
	v_pk_mul_f16 v4, v4, v2
	s_waitcnt vmcnt(2)
	v_pk_mul_f16 v5, v5, v2
	;; [unrolled: 2-line block ×4, first 2 shown]
	buffer_store_dword v4, v3, s[0:3], 0 offen
	buffer_store_dword v5, v3, s[0:3], 0 offen offset:4
	buffer_store_dword v6, v3, s[0:3], 0 offen offset:8
	;; [unrolled: 1-line block ×3, first 2 shown]
.LBB28_42:
	s_or_b64 exec, exec, s[12:13]
	v_cmp_eq_u32_e32 vcc, 0, v1
	v_add_u32_e32 v4, 0x900, v90
	v_or_b32_e32 v10, 0x800, v90
	s_and_saveexec_b64 s[8:9], vcc
	s_cbranch_execz .LBB28_44
; %bb.43:
	v_mov_b32_e32 v2, 0xfeffffff
	v_mov_b32_e32 v3, 0
	ds_write2_b32 v10, v2, v2 offset1:32
	ds_write2_b32 v4, v3, v3 offset1:32
.LBB28_44:
	s_or_b64 exec, exec, s[8:9]
	v_cmp_eq_u32_e64 s[8:9], 0, v0
	s_waitcnt vmcnt(0) lgkmcnt(0)
	s_barrier
	s_and_saveexec_b64 s[10:11], s[8:9]
; %bb.45:
	v_lshlrev_b32_e32 v2, 2, v1
	v_add_u32_e32 v2, 0x800, v2
	ds_write2_b32 v2, v86, v87 offset1:32
; %bb.46:
	s_or_b64 exec, exec, s[10:11]
	s_cmp_lt_i32 s33, s22
	s_waitcnt lgkmcnt(0)
	s_barrier
	s_cbranch_scc1 .LBB28_48
; %bb.47:
	s_load_dword s12, s[4:5], 0xd4
	s_mul_i32 s6, s54, s22
	s_cbranch_execz .LBB28_49
	s_branch .LBB28_56
.LBB28_48:
                                        ; implicit-def: $sgpr12
	s_mul_i32 s6, s54, s22
.LBB28_49:
	v_mbcnt_hi_u32_b32 v2, -1, v95
	ds_read_b32 v7, v10
	buffer_load_dword v12, off, s[0:3], 0
	buffer_load_dword v14, off, s[0:3], 0 offset:4
	buffer_load_dword v15, off, s[0:3], 0 offset:8
	v_and_b32_e32 v3, 0x60, v2
	v_add_u32_e32 v3, 32, v3
	v_xor_b32_e32 v5, 16, v2
	buffer_load_dword v16, off, s[0:3], 0 offset:12
	v_cmp_lt_i32_e32 vcc, v5, v3
	v_cndmask_b32_e32 v5, v2, v5, vcc
	v_lshlrev_b32_e32 v5, 2, v5
	s_waitcnt lgkmcnt(0)
	ds_bpermute_b32 v8, v5, v7
	v_xor_b32_e32 v6, 8, v2
	v_cmp_lt_i32_e32 vcc, v6, v3
	v_cndmask_b32_e32 v6, v2, v6, vcc
	v_max_f32_e32 v7, v7, v7
	s_waitcnt lgkmcnt(0)
	v_max_f32_e32 v8, v8, v8
	v_lshlrev_b32_e32 v6, 2, v6
	v_max_f32_e32 v8, v7, v8
	ds_bpermute_b32 v9, v6, v8
	v_xor_b32_e32 v7, 4, v2
	v_cmp_lt_i32_e32 vcc, v7, v3
	v_cndmask_b32_e32 v7, v2, v7, vcc
	v_lshlrev_b32_e32 v7, 2, v7
	s_waitcnt lgkmcnt(0)
	v_max_f32_e32 v9, v9, v9
	v_max_f32_e32 v9, v8, v9
	ds_bpermute_b32 v11, v7, v9
	v_xor_b32_e32 v8, 2, v2
	v_cmp_lt_i32_e32 vcc, v8, v3
	v_cndmask_b32_e32 v8, v2, v8, vcc
	v_lshlrev_b32_e32 v8, 2, v8
	s_waitcnt lgkmcnt(0)
	v_max_f32_e32 v11, v11, v11
	;; [unrolled: 8-line block ×3, first 2 shown]
	v_max_f32_e32 v2, v11, v2
	ds_bpermute_b32 v3, v9, v2
	s_mov_b32 s10, 0x3fb8aa3b
	v_lshlrev_b32_e32 v18, 3, v0
	s_load_dword s12, s[4:5], 0xd4
	s_waitcnt lgkmcnt(0)
	v_max_f32_e32 v3, v3, v3
	v_max_f32_e32 v2, v2, v3
	v_sub_f32_e32 v3, v86, v2
	v_mul_f32_e32 v11, 0x3fb8aa3b, v3
	v_fma_f32 v13, v3, s10, -v11
	v_rndne_f32_e32 v17, v11
	v_fmac_f32_e32 v13, 0x32a5705f, v3
	v_sub_f32_e32 v11, v11, v17
	v_add_f32_e32 v11, v11, v13
	v_exp_f32_e32 v11, v11
	v_cvt_i32_f32_e32 v13, v17
	s_mov_b32 s10, 0xc2ce8ed0
	v_cmp_ngt_f32_e32 vcc, s10, v3
	s_mov_b32 s10, 0x42b17218
	v_ldexp_f32 v11, v11, v13
	v_cndmask_b32_e32 v11, 0, v11, vcc
	v_mov_b32_e32 v13, 0x7f800000
	v_cmp_nlt_f32_e32 vcc, s10, v3
	v_cndmask_b32_e32 v3, v13, v11, vcc
	v_mul_f32_e32 v11, v93, v3
	ds_bpermute_b32 v11, v5, v11
	v_mov_b32_e32 v17, 0x900
	v_lshl_add_u32 v1, v1, 2, v17
	s_waitcnt lgkmcnt(0)
	v_fmac_f32_e32 v11, v93, v3
	ds_bpermute_b32 v13, v6, v11
	v_cvt_f16_f32_e32 v3, v3
	s_waitcnt lgkmcnt(0)
	v_add_f32_e32 v13, v11, v13
	ds_bpermute_b32 v19, v7, v13
	v_mul_u32_u24_e32 v17, 0x10001, v3
	v_add_u32_e32 v11, v88, v18
	s_waitcnt lgkmcnt(0)
	v_add_f32_e32 v3, v13, v19
	ds_bpermute_b32 v18, v8, v3
	s_waitcnt vmcnt(3)
	v_pk_mul_f16 v13, v12, v17
	s_waitcnt vmcnt(2)
	v_pk_mul_f16 v14, v14, v17
	;; [unrolled: 2-line block ×4, first 2 shown]
	s_waitcnt lgkmcnt(0)
	v_add_f32_e32 v3, v3, v18
	ds_bpermute_b32 v12, v9, v3
	buffer_store_dword v13, off, s[0:3], 0
	buffer_store_dword v14, off, s[0:3], 0 offset:4
	buffer_store_dword v15, off, s[0:3], 0 offset:8
	;; [unrolled: 1-line block ×3, first 2 shown]
	ds_write2_b64 v11, v[13:14], v[15:16] offset1:32
	s_and_saveexec_b64 s[4:5], s[8:9]
	s_cbranch_execz .LBB28_51
; %bb.50:
	s_waitcnt lgkmcnt(1)
	v_add_f32_e32 v3, v3, v12
	ds_write_b32 v1, v3
.LBB28_51:
	s_or_b64 exec, exec, s[4:5]
	s_waitcnt vmcnt(0) lgkmcnt(0)
	s_barrier
	ds_read_b32 v3, v4
	ds_read_u16 v12, v91
	ds_read_u16 v13, v91 offset:1280
	ds_read_u16 v14, v91 offset:768
	;; [unrolled: 1-line block ×3, first 2 shown]
	s_waitcnt lgkmcnt(4)
	ds_bpermute_b32 v16, v5, v3
	ds_read_u16 v17, v91 offset:512
	ds_read_u16 v18, v91 offset:1024
	ds_read_u16 v19, v91 offset:1536
	ds_read_u16 v20, v91 offset:1792
	s_waitcnt lgkmcnt(8)
	v_cvt_f32_f16_e32 v12, v12
	s_waitcnt lgkmcnt(3)
	v_cvt_f32_f16_e32 v17, v17
	s_waitcnt lgkmcnt(2)
	v_cvt_f32_f16_e32 v18, v18
	v_add_f32_e32 v3, v3, v16
	ds_bpermute_b32 v16, v6, v3
	s_waitcnt lgkmcnt(2)
	v_cvt_f32_f16_e32 v19, v19
	v_cvt_f32_f16_e32 v15, v15
	;; [unrolled: 1-line block ×3, first 2 shown]
	v_add_f32_e32 v12, 0, v12
	s_waitcnt lgkmcnt(0)
	v_add_f32_e32 v3, v3, v16
	ds_bpermute_b32 v16, v7, v3
	v_cvt_f32_f16_e32 v13, v13
	v_add_f32_e32 v12, v12, v17
	v_cvt_f32_f16_e32 v20, v20
	v_add_f32_e32 v12, v12, v18
	s_waitcnt lgkmcnt(0)
	v_add_f32_e32 v3, v3, v16
	ds_bpermute_b32 v16, v8, v3
	v_add_f32_e32 v12, v12, v19
	v_add_f32_e32 v15, 0, v15
	;; [unrolled: 1-line block ×4, first 2 shown]
	s_waitcnt lgkmcnt(0)
	v_add_f32_e32 v3, v3, v16
	ds_bpermute_b32 v16, v9, v3
	v_add_f32_e32 v14, v13, v20
	s_cmp_eq_u32 s12, 1
	s_waitcnt lgkmcnt(0)
	v_add_f32_e32 v93, v3, v16
	v_div_scale_f32 v3, s[4:5], v93, v93, v12
	v_div_scale_f32 v13, s[4:5], v93, v93, v14
	v_div_scale_f32 v15, vcc, v12, v93, v12
	v_div_scale_f32 v16, s[4:5], v14, v93, v14
	v_rcp_f32_e32 v17, v3
	v_rcp_f32_e32 v18, v13
	v_fma_f32 v19, -v3, v17, 1.0
	v_fmac_f32_e32 v17, v19, v17
	v_mul_f32_e32 v19, v15, v17
	v_fma_f32 v20, -v13, v18, 1.0
	v_fma_f32 v21, -v3, v19, v15
	v_fmac_f32_e32 v18, v20, v18
	v_fmac_f32_e32 v19, v21, v17
	v_mul_f32_e32 v20, v16, v18
	v_fma_f32 v3, -v3, v19, v15
	v_div_fmas_f32 v15, v3, v17, v19
	v_fma_f32 v3, -v13, v20, v16
	v_fmac_f32_e32 v20, v3, v18
	v_fma_f32 v3, -v13, v20, v16
	s_mov_b64 vcc, s[4:5]
	v_div_fmas_f32 v16, v3, v18, v20
	s_cselect_b64 s[4:5], -1, 0
	s_add_i32 s10, s6, s33
	s_mul_i32 s13, s10, s23
	s_add_i32 s13, s13, s24
	s_mul_i32 s10, s12, s13
	s_add_i32 s10, s10, s7
	v_mov_b32_e32 v13, 0
	v_mov_b32_e32 v17, s49
	;; [unrolled: 1-line block ×3, first 2 shown]
	v_div_fixup_f32 v15, v15, v93, v12
	v_cndmask_b32_e64 v15, v12, v15, s[4:5]
	v_div_fixup_f32 v12, v16, v93, v14
	v_cndmask_b32_e64 v14, v14, v12, s[4:5]
	v_lshl_or_b32 v12, s10, 8, v89
	v_lshlrev_b64 v[12:13], 2, v[12:13]
	s_or_b32 s10, s33, 1
	v_add_co_u32_e32 v12, vcc, s48, v12
	v_addc_co_u32_e32 v13, vcc, v17, v13, vcc
	s_cmp_ge_i32 s10, s22
	global_store_dword v[12:13], v15, off
	global_store_dword v[12:13], v14, off offset:512
	s_waitcnt vmcnt(0)
	s_barrier
	s_cbranch_scc1 .LBB28_55
; %bb.52:
	ds_read_b32 v3, v10 offset:128
	buffer_load_dword v13, off, s[0:3], 0 offset:16
	buffer_load_dword v14, off, s[0:3], 0 offset:20
	;; [unrolled: 1-line block ×4, first 2 shown]
	s_mov_b32 s10, 0x3fb8aa3b
	s_mov_b32 s11, 0x42b17218
	s_waitcnt lgkmcnt(0)
	ds_bpermute_b32 v10, v5, v3
	v_max_f32_e32 v3, v3, v3
	s_waitcnt lgkmcnt(0)
	v_max_f32_e32 v10, v10, v10
	v_max_f32_e32 v3, v3, v10
	ds_bpermute_b32 v10, v6, v3
	s_waitcnt lgkmcnt(0)
	v_max_f32_e32 v10, v10, v10
	v_max_f32_e32 v3, v3, v10
	ds_bpermute_b32 v10, v7, v3
	;; [unrolled: 4-line block ×4, first 2 shown]
	s_waitcnt lgkmcnt(0)
	v_max_f32_e32 v10, v10, v10
	v_max_f32_e32 v3, v3, v10
	v_sub_f32_e32 v10, v87, v3
	v_mul_f32_e32 v12, 0x3fb8aa3b, v10
	v_fma_f32 v17, v10, s10, -v12
	v_rndne_f32_e32 v18, v12
	v_fmac_f32_e32 v17, 0x32a5705f, v10
	v_sub_f32_e32 v12, v12, v18
	v_add_f32_e32 v12, v12, v17
	v_cvt_i32_f32_e32 v18, v18
	v_exp_f32_e32 v12, v12
	s_mov_b32 s10, 0xc2ce8ed0
	v_cmp_ngt_f32_e32 vcc, s10, v10
	v_mov_b32_e32 v17, 0x7f800000
	v_ldexp_f32 v12, v12, v18
	v_cndmask_b32_e32 v12, 0, v12, vcc
	v_cmp_nlt_f32_e32 vcc, s11, v10
	v_cndmask_b32_e32 v10, v17, v12, vcc
	v_mul_f32_e32 v12, v94, v10
	ds_bpermute_b32 v12, v5, v12
	s_waitcnt lgkmcnt(0)
	v_fmac_f32_e32 v12, v94, v10
	ds_bpermute_b32 v17, v6, v12
	v_cvt_f16_f32_e32 v10, v10
	s_waitcnt lgkmcnt(0)
	v_add_f32_e32 v12, v12, v17
	ds_bpermute_b32 v17, v7, v12
	v_mul_u32_u24_e32 v18, 0x10001, v10
	s_waitcnt lgkmcnt(0)
	v_add_f32_e32 v12, v12, v17
	ds_bpermute_b32 v17, v8, v12
	s_waitcnt vmcnt(3)
	v_pk_mul_f16 v13, v13, v18
	s_waitcnt vmcnt(2)
	v_pk_mul_f16 v14, v14, v18
	s_waitcnt lgkmcnt(0)
	v_add_f32_e32 v10, v12, v17
	ds_bpermute_b32 v12, v9, v10
	s_waitcnt vmcnt(1)
	v_pk_mul_f16 v15, v15, v18
	s_waitcnt vmcnt(0)
	v_pk_mul_f16 v16, v16, v18
	buffer_store_dword v13, off, s[0:3], 0 offset:16
	buffer_store_dword v14, off, s[0:3], 0 offset:20
	;; [unrolled: 1-line block ×4, first 2 shown]
	ds_write2_b64 v11, v[13:14], v[15:16] offset1:32
	s_and_saveexec_b64 s[10:11], s[8:9]
	s_cbranch_execz .LBB28_54
; %bb.53:
	s_waitcnt lgkmcnt(1)
	v_add_f32_e32 v10, v10, v12
	ds_write_b32 v1, v10 offset:128
.LBB28_54:
	s_or_b64 exec, exec, s[10:11]
	s_waitcnt vmcnt(0) lgkmcnt(0)
	s_barrier
	ds_read_b32 v1, v4 offset:128
	ds_read_u16 v4, v91
	ds_read_u16 v10, v91 offset:1280
	ds_read_u16 v11, v91 offset:768
	;; [unrolled: 1-line block ×3, first 2 shown]
	s_waitcnt lgkmcnt(4)
	ds_bpermute_b32 v5, v5, v1
	s_waitcnt lgkmcnt(4)
	v_cvt_f32_f16_e32 v4, v4
	s_waitcnt lgkmcnt(3)
	v_cvt_f32_f16_e32 v10, v10
	;; [unrolled: 2-line block ×3, first 2 shown]
	s_add_i32 s13, s13, s23
	s_waitcnt lgkmcnt(0)
	v_add_f32_e32 v1, v1, v5
	ds_bpermute_b32 v5, v6, v1
	ds_read_u16 v6, v91 offset:512
	ds_read_u16 v13, v91 offset:1024
	;; [unrolled: 1-line block ×4, first 2 shown]
	v_add_f32_e32 v4, 0, v4
	s_waitcnt lgkmcnt(3)
	v_cvt_f32_f16_e32 v6, v6
	v_add_f32_e32 v1, v1, v5
	ds_bpermute_b32 v5, v7, v1
	s_waitcnt lgkmcnt(3)
	v_cvt_f32_f16_e32 v7, v13
	s_waitcnt lgkmcnt(2)
	v_cvt_f32_f16_e32 v13, v14
	v_add_f32_e32 v4, v4, v6
	s_waitcnt lgkmcnt(0)
	v_add_f32_e32 v1, v1, v5
	ds_bpermute_b32 v5, v8, v1
	v_cvt_f32_f16_e32 v8, v12
	v_cvt_f32_f16_e32 v12, v15
	v_add_f32_e32 v4, v4, v7
	v_add_f32_e32 v6, v4, v13
	s_waitcnt lgkmcnt(0)
	v_add_f32_e32 v1, v1, v5
	ds_bpermute_b32 v5, v9, v1
	v_add_f32_e32 v4, 0, v8
	v_add_f32_e32 v4, v4, v11
	;; [unrolled: 1-line block ×4, first 2 shown]
	s_waitcnt lgkmcnt(0)
	v_add_f32_e32 v94, v1, v5
	v_div_scale_f32 v1, s[8:9], v94, v94, v6
	v_div_scale_f32 v4, s[8:9], v94, v94, v7
	v_div_scale_f32 v5, vcc, v6, v94, v6
	v_div_scale_f32 v8, s[8:9], v7, v94, v7
	v_rcp_f32_e32 v9, v1
	v_rcp_f32_e32 v10, v4
	v_fma_f32 v11, -v1, v9, 1.0
	v_fmac_f32_e32 v9, v11, v9
	v_fma_f32 v12, -v4, v10, 1.0
	v_fmac_f32_e32 v10, v12, v10
	v_mul_f32_e32 v11, v5, v9
	v_mul_f32_e32 v12, v8, v10
	v_fma_f32 v13, -v1, v11, v5
	v_fma_f32 v14, -v4, v12, v8
	v_fmac_f32_e32 v11, v13, v9
	v_fmac_f32_e32 v12, v14, v10
	v_fma_f32 v1, -v1, v11, v5
	v_fma_f32 v4, -v4, v12, v8
	v_div_fmas_f32 v1, v1, v9, v11
	s_mov_b64 vcc, s[8:9]
	v_div_fmas_f32 v8, v4, v10, v12
	s_mul_i32 s8, s12, s13
	s_add_i32 s8, s8, s7
	v_mov_b32_e32 v5, 0
	v_lshl_or_b32 v4, s8, 8, v89
	v_lshlrev_b64 v[4:5], 2, v[4:5]
	v_mov_b32_e32 v9, s49
	v_add_co_u32_e32 v4, vcc, s48, v4
	v_addc_co_u32_e32 v5, vcc, v9, v5, vcc
	v_div_fixup_f32 v1, v1, v94, v6
	v_cndmask_b32_e64 v1, v6, v1, s[4:5]
	v_div_fixup_f32 v6, v8, v94, v7
	global_store_dword v[4:5], v1, off
	v_cndmask_b32_e64 v1, v7, v6, s[4:5]
	global_store_dword v[4:5], v1, off offset:512
.LBB28_55:
	v_mov_b32_e32 v87, v3
	v_mov_b32_e32 v86, v2
.LBB28_56:
	s_waitcnt lgkmcnt(0)
	s_cmp_lg_u32 s12, 1
	s_cselect_b64 s[4:5], -1, 0
	v_cmp_gt_u32_e32 vcc, 2, v89
	v_or_b32_e32 v0, s33, v0
	s_and_b64 s[4:5], s[4:5], vcc
	v_cmp_gt_i32_e32 vcc, s22, v0
	s_and_b64 s[4:5], s[4:5], vcc
	s_and_saveexec_b64 s[8:9], s[4:5]
	s_cbranch_execz .LBB28_58
; %bb.57:
	v_add_u32_e32 v0, s6, v0
	v_mul_lo_u32 v1, v0, s23
	v_mov_b32_e32 v3, 0
	v_cmp_eq_u32_e32 vcc, 1, v89
	v_cndmask_b32_e32 v0, v86, v87, vcc
	v_add_u32_e32 v1, s24, v1
	v_mul_lo_u32 v2, s12, v1
	v_mov_b32_e32 v4, s51
	v_cndmask_b32_e32 v1, v93, v94, vcc
	v_add_u32_e32 v2, s7, v2
	v_lshlrev_b64 v[2:3], 3, v[2:3]
	v_add_co_u32_e32 v2, vcc, s50, v2
	v_addc_co_u32_e32 v3, vcc, v4, v3, vcc
	global_store_dwordx2 v[2:3], v[0:1], off
.LBB28_58:
	s_endpgm
	.section	.rodata,"a",@progbits
	.p2align	6, 0x0
	.amdhsa_kernel _ZL18flash_attn_ext_vecILi256ELi2EL9ggml_type2ELS0_8ELb0EEvPKcS2_S2_S2_S2_PKiPfP15HIP_vector_typeIfLj2EEffffjfiS6_IjLj3EEiiiiiiiiiiiliiliiiiil
		.amdhsa_group_segment_fixed_size 2560
		.amdhsa_private_segment_fixed_size 48
		.amdhsa_kernarg_size 464
		.amdhsa_user_sgpr_count 6
		.amdhsa_user_sgpr_private_segment_buffer 1
		.amdhsa_user_sgpr_dispatch_ptr 0
		.amdhsa_user_sgpr_queue_ptr 0
		.amdhsa_user_sgpr_kernarg_segment_ptr 1
		.amdhsa_user_sgpr_dispatch_id 0
		.amdhsa_user_sgpr_flat_scratch_init 0
		.amdhsa_user_sgpr_private_segment_size 0
		.amdhsa_uses_dynamic_stack 0
		.amdhsa_system_sgpr_private_segment_wavefront_offset 1
		.amdhsa_system_sgpr_workgroup_id_x 1
		.amdhsa_system_sgpr_workgroup_id_y 1
		.amdhsa_system_sgpr_workgroup_id_z 1
		.amdhsa_system_sgpr_workgroup_info 0
		.amdhsa_system_vgpr_workitem_id 1
		.amdhsa_next_free_vgpr 212
		.amdhsa_next_free_sgpr 61
		.amdhsa_reserve_vcc 1
		.amdhsa_reserve_flat_scratch 0
		.amdhsa_float_round_mode_32 0
		.amdhsa_float_round_mode_16_64 0
		.amdhsa_float_denorm_mode_32 3
		.amdhsa_float_denorm_mode_16_64 3
		.amdhsa_dx10_clamp 1
		.amdhsa_ieee_mode 1
		.amdhsa_fp16_overflow 0
		.amdhsa_exception_fp_ieee_invalid_op 0
		.amdhsa_exception_fp_denorm_src 0
		.amdhsa_exception_fp_ieee_div_zero 0
		.amdhsa_exception_fp_ieee_overflow 0
		.amdhsa_exception_fp_ieee_underflow 0
		.amdhsa_exception_fp_ieee_inexact 0
		.amdhsa_exception_int_div_zero 0
	.end_amdhsa_kernel
	.section	.text._ZL18flash_attn_ext_vecILi256ELi2EL9ggml_type2ELS0_8ELb0EEvPKcS2_S2_S2_S2_PKiPfP15HIP_vector_typeIfLj2EEffffjfiS6_IjLj3EEiiiiiiiiiiiliiliiiiil,"axG",@progbits,_ZL18flash_attn_ext_vecILi256ELi2EL9ggml_type2ELS0_8ELb0EEvPKcS2_S2_S2_S2_PKiPfP15HIP_vector_typeIfLj2EEffffjfiS6_IjLj3EEiiiiiiiiiiiliiliiiiil,comdat
.Lfunc_end28:
	.size	_ZL18flash_attn_ext_vecILi256ELi2EL9ggml_type2ELS0_8ELb0EEvPKcS2_S2_S2_S2_PKiPfP15HIP_vector_typeIfLj2EEffffjfiS6_IjLj3EEiiiiiiiiiiiliiliiiiil, .Lfunc_end28-_ZL18flash_attn_ext_vecILi256ELi2EL9ggml_type2ELS0_8ELb0EEvPKcS2_S2_S2_S2_PKiPfP15HIP_vector_typeIfLj2EEffffjfiS6_IjLj3EEiiiiiiiiiiiliiliiiiil
                                        ; -- End function
	.set _ZL18flash_attn_ext_vecILi256ELi2EL9ggml_type2ELS0_8ELb0EEvPKcS2_S2_S2_S2_PKiPfP15HIP_vector_typeIfLj2EEffffjfiS6_IjLj3EEiiiiiiiiiiiliiliiiiil.num_vgpr, 212
	.set _ZL18flash_attn_ext_vecILi256ELi2EL9ggml_type2ELS0_8ELb0EEvPKcS2_S2_S2_S2_PKiPfP15HIP_vector_typeIfLj2EEffffjfiS6_IjLj3EEiiiiiiiiiiiliiliiiiil.num_agpr, 0
	.set _ZL18flash_attn_ext_vecILi256ELi2EL9ggml_type2ELS0_8ELb0EEvPKcS2_S2_S2_S2_PKiPfP15HIP_vector_typeIfLj2EEffffjfiS6_IjLj3EEiiiiiiiiiiiliiliiiiil.numbered_sgpr, 55
	.set _ZL18flash_attn_ext_vecILi256ELi2EL9ggml_type2ELS0_8ELb0EEvPKcS2_S2_S2_S2_PKiPfP15HIP_vector_typeIfLj2EEffffjfiS6_IjLj3EEiiiiiiiiiiiliiliiiiil.num_named_barrier, 0
	.set _ZL18flash_attn_ext_vecILi256ELi2EL9ggml_type2ELS0_8ELb0EEvPKcS2_S2_S2_S2_PKiPfP15HIP_vector_typeIfLj2EEffffjfiS6_IjLj3EEiiiiiiiiiiiliiliiiiil.private_seg_size, 48
	.set _ZL18flash_attn_ext_vecILi256ELi2EL9ggml_type2ELS0_8ELb0EEvPKcS2_S2_S2_S2_PKiPfP15HIP_vector_typeIfLj2EEffffjfiS6_IjLj3EEiiiiiiiiiiiliiliiiiil.uses_vcc, 1
	.set _ZL18flash_attn_ext_vecILi256ELi2EL9ggml_type2ELS0_8ELb0EEvPKcS2_S2_S2_S2_PKiPfP15HIP_vector_typeIfLj2EEffffjfiS6_IjLj3EEiiiiiiiiiiiliiliiiiil.uses_flat_scratch, 0
	.set _ZL18flash_attn_ext_vecILi256ELi2EL9ggml_type2ELS0_8ELb0EEvPKcS2_S2_S2_S2_PKiPfP15HIP_vector_typeIfLj2EEffffjfiS6_IjLj3EEiiiiiiiiiiiliiliiiiil.has_dyn_sized_stack, 0
	.set _ZL18flash_attn_ext_vecILi256ELi2EL9ggml_type2ELS0_8ELb0EEvPKcS2_S2_S2_S2_PKiPfP15HIP_vector_typeIfLj2EEffffjfiS6_IjLj3EEiiiiiiiiiiiliiliiiiil.has_recursion, 0
	.set _ZL18flash_attn_ext_vecILi256ELi2EL9ggml_type2ELS0_8ELb0EEvPKcS2_S2_S2_S2_PKiPfP15HIP_vector_typeIfLj2EEffffjfiS6_IjLj3EEiiiiiiiiiiiliiliiiiil.has_indirect_call, 0
	.section	.AMDGPU.csdata,"",@progbits
; Kernel info:
; codeLenInByte = 27444
; TotalNumSgprs: 59
; NumVgprs: 212
; ScratchSize: 48
; MemoryBound: 0
; FloatMode: 240
; IeeeMode: 1
; LDSByteSize: 2560 bytes/workgroup (compile time only)
; SGPRBlocks: 8
; VGPRBlocks: 52
; NumSGPRsForWavesPerEU: 65
; NumVGPRsForWavesPerEU: 212
; Occupancy: 1
; WaveLimiterHint : 1
; COMPUTE_PGM_RSRC2:SCRATCH_EN: 1
; COMPUTE_PGM_RSRC2:USER_SGPR: 6
; COMPUTE_PGM_RSRC2:TRAP_HANDLER: 0
; COMPUTE_PGM_RSRC2:TGID_X_EN: 1
; COMPUTE_PGM_RSRC2:TGID_Y_EN: 1
; COMPUTE_PGM_RSRC2:TGID_Z_EN: 1
; COMPUTE_PGM_RSRC2:TIDIG_COMP_CNT: 1
	.section	.text._ZL33flash_attn_stream_k_fixup_uniformILi256ELi2ELi1EEvPfPK15HIP_vector_typeIfLj2EEiiiiiiS1_IjLj3EES5_S5_,"axG",@progbits,_ZL33flash_attn_stream_k_fixup_uniformILi256ELi2ELi1EEvPfPK15HIP_vector_typeIfLj2EEiiiiiiS1_IjLj3EES5_S5_,comdat
	.globl	_ZL33flash_attn_stream_k_fixup_uniformILi256ELi2ELi1EEvPfPK15HIP_vector_typeIfLj2EEiiiiiiS1_IjLj3EES5_S5_ ; -- Begin function _ZL33flash_attn_stream_k_fixup_uniformILi256ELi2ELi1EEvPfPK15HIP_vector_typeIfLj2EEiiiiiiS1_IjLj3EES5_S5_
	.p2align	8
	.type	_ZL33flash_attn_stream_k_fixup_uniformILi256ELi2ELi1EEvPfPK15HIP_vector_typeIfLj2EEiiiiiiS1_IjLj3EES5_S5_,@function
_ZL33flash_attn_stream_k_fixup_uniformILi256ELi2ELi1EEvPfPK15HIP_vector_typeIfLj2EEiiiiiiS1_IjLj3EES5_S5_: ; @_ZL33flash_attn_stream_k_fixup_uniformILi256ELi2ELi1EEvPfPK15HIP_vector_typeIfLj2EEiiiiiiS1_IjLj3EES5_S5_
; %bb.0:
	s_load_dwordx8 s[12:19], s[4:5], 0x1c
	s_load_dwordx2 s[10:11], s[4:5], 0x10
	s_load_dwordx4 s[0:3], s[4:5], 0x3c
	s_waitcnt lgkmcnt(0)
	s_mul_hi_u32 s9, s15, s6
	s_add_i32 s9, s6, s9
	s_lshr_b32 s9, s9, s16
	s_mul_i32 s15, s9, s17
	s_sub_i32 s15, s6, s15
	s_mul_hi_u32 s16, s15, s18
	s_add_i32 s16, s15, s16
	s_lshr_b32 s16, s16, s19
	s_mul_i32 s0, s16, s0
	s_sub_i32 s0, s15, s0
	s_mul_hi_u32 s1, s0, s1
	s_add_i32 s1, s0, s1
	s_lshr_b32 s15, s1, s2
	s_mul_i32 s1, s15, s3
	s_sub_i32 s17, s0, s1
	s_lshl_b32 s0, s17, 1
	s_add_i32 s0, s0, s7
	s_cmp_lt_i32 s0, s10
	s_cselect_b64 s[0:1], -1, 0
	s_add_i32 s2, s15, s8
	s_cmp_lt_i32 s2, s13
	s_cselect_b64 s[2:3], -1, 0
	s_and_b64 s[0:1], s[0:1], s[2:3]
	s_andn2_b64 vcc, exec, s[0:1]
	s_cbranch_vccnz .LBB29_6
; %bb.1:
	s_load_dwordx4 s[0:3], s[4:5], 0x0
	s_mul_i32 s4, s9, s10
	s_add_i32 s4, s4, s7
	s_mul_i32 s4, s4, s11
	s_mul_i32 s16, s16, s13
	s_add_i32 s4, s4, s8
	s_add_i32 s4, s4, s16
	s_mul_i32 s5, s11, s17
	s_add_i32 s4, s4, s15
	s_lshl_b32 s5, s5, 9
	s_lshl_b32 s4, s4, 8
	s_add_i32 s5, s5, s4
	v_or_b32_e32 v1, s5, v0
	v_ashrrev_i32_e32 v2, 31, v1
	v_lshlrev_b64 v[1:2], 2, v[1:2]
	s_waitcnt lgkmcnt(0)
	v_mov_b32_e32 v3, s1
	v_add_co_u32_e32 v1, vcc, s0, v1
	v_addc_co_u32_e32 v2, vcc, v3, v2, vcc
	global_load_dword v8, v[1:2], off
	s_add_i32 s4, s7, s8
	s_mul_i32 s7, s14, s6
	s_add_i32 s5, s7, s14
	s_lshl_b32 s0, s5, 1
	s_add_i32 s0, s4, s0
	s_add_i32 s0, s0, -2
	s_ashr_i32 s1, s0, 31
	s_lshl_b64 s[0:1], s[0:1], 3
	s_add_u32 s0, s2, s0
	s_addc_u32 s1, s3, s1
	s_load_dword s10, s[0:1], 0x4
	s_add_i32 s8, s5, -2
	s_cmp_lt_i32 s8, s7
	s_cbranch_scc1 .LBB29_4
; %bb.2:
	s_lshl_b32 s8, s12, 3
	s_ashr_i32 s9, s8, 31
	s_lshl_b64 s[8:9], s[8:9], 2
	s_add_u32 s8, s2, s8
	s_addc_u32 s11, s3, s9
	s_add_i32 s6, s6, 1
	s_add_i32 s9, s5, -1
	s_mul_i32 s5, s14, s6
	s_load_dword s0, s[0:1], 0x0
	s_lshl_b32 s1, s4, 8
	s_lshl_b32 s6, s5, 9
	s_add_i32 s1, s1, s6
	v_or_b32_e32 v0, s1, v0
	s_lshl_b32 s1, s5, 1
	s_add_i32 s1, s4, s1
	s_lshl_b32 s4, s12, 1
	s_add_i32 s1, s1, s4
	v_add_u32_e32 v3, 0xfffffc00, v0
	s_add_i32 s4, s1, -4
	s_waitcnt lgkmcnt(0)
	v_mov_b32_e32 v7, s10
	v_mov_b32_e32 v6, s0
	;; [unrolled: 1-line block ×3, first 2 shown]
	s_mov_b32 s6, 0x3fb8aa3b
	s_mov_b32 s10, 0xc2ce8ed0
	;; [unrolled: 1-line block ×3, first 2 shown]
	v_mov_b32_e32 v5, 0x7f800000
	s_mov_b32 s12, 0xc1a00000
.LBB29_3:                               ; =>This Inner Loop Header: Depth=1
	v_ashrrev_i32_e32 v4, 31, v3
	v_lshlrev_b64 v[9:10], 2, v[3:4]
	s_ashr_i32 s5, s4, 31
	v_add_co_u32_e32 v9, vcc, s8, v9
	v_addc_co_u32_e32 v10, vcc, v0, v10, vcc
	global_load_dword v4, v[9:10], off
	s_lshl_b64 s[0:1], s[4:5], 3
	s_add_u32 s0, s2, s0
	s_addc_u32 s1, s3, s1
	s_load_dwordx2 s[14:15], s[0:1], 0x0
	s_waitcnt vmcnt(1)
	v_mov_b32_e32 v9, v8
	v_max_f32_e32 v8, v6, v6
	v_mov_b32_e32 v10, v7
	s_add_i32 s9, s9, -1
	s_waitcnt lgkmcnt(0)
	v_max_f32_e64 v7, s14, s14
	v_max_f32_e32 v7, v8, v7
	v_sub_f32_e32 v11, s14, v7
	v_sub_f32_e32 v8, v6, v7
	v_mul_f32_e32 v12, 0x3fb8aa3b, v11
	v_mov_b32_e32 v6, v7
	v_mul_f32_e32 v7, 0x3fb8aa3b, v8
	v_fma_f32 v15, v11, s6, -v12
	v_rndne_f32_e32 v16, v12
	v_fma_f32 v13, v8, s6, -v7
	v_rndne_f32_e32 v14, v7
	v_fmac_f32_e32 v15, 0x32a5705f, v11
	v_sub_f32_e32 v12, v12, v16
	v_fmac_f32_e32 v13, 0x32a5705f, v8
	v_sub_f32_e32 v7, v7, v14
	v_add_f32_e32 v12, v12, v15
	v_cvt_i32_f32_e32 v16, v16
	v_add_f32_e32 v7, v7, v13
	v_exp_f32_e32 v12, v12
	v_cvt_i32_f32_e32 v14, v14
	v_exp_f32_e32 v7, v7
	v_cmp_ngt_f32_e32 vcc, s10, v11
	v_ldexp_f32 v12, v12, v16
	v_cmp_ngt_f32_e64 s[0:1], s10, v8
	v_ldexp_f32 v7, v7, v14
	v_cndmask_b32_e32 v12, 0, v12, vcc
	v_cmp_nlt_f32_e32 vcc, s11, v11
	v_cndmask_b32_e64 v7, 0, v7, s[0:1]
	v_cmp_nlt_f32_e64 s[0:1], s11, v8
	v_cndmask_b32_e32 v12, v5, v12, vcc
	v_cmp_le_f32_e32 vcc, s12, v11
	v_cndmask_b32_e64 v7, v5, v7, s[0:1]
	v_cmp_le_f32_e64 s[0:1], s12, v8
	v_cndmask_b32_e32 v8, 0, v12, vcc
	s_add_i32 s4, s4, -2
	v_cndmask_b32_e64 v11, 0, v7, s[0:1]
	v_mul_f32_e32 v7, s15, v8
	v_add_u32_e32 v3, 0xfffffe00, v3
	s_cmp_le_i32 s9, s7
	v_fmac_f32_e32 v7, v10, v11
	s_waitcnt vmcnt(0)
	v_mul_f32_e32 v8, v4, v8
	v_fmac_f32_e32 v8, v9, v11
	s_cbranch_scc0 .LBB29_3
	s_branch .LBB29_5
.LBB29_4:
	s_waitcnt lgkmcnt(0)
	v_mov_b32_e32 v7, s10
.LBB29_5:
	s_waitcnt vmcnt(0)
	v_div_scale_f32 v0, s[0:1], v7, v7, v8
	v_div_scale_f32 v3, vcc, v8, v7, v8
	v_rcp_f32_e32 v4, v0
	v_fma_f32 v5, -v0, v4, 1.0
	v_fmac_f32_e32 v4, v5, v4
	v_mul_f32_e32 v5, v3, v4
	v_fma_f32 v6, -v0, v5, v3
	v_fmac_f32_e32 v5, v6, v4
	v_fma_f32 v0, -v0, v5, v3
	v_div_fmas_f32 v0, v0, v4, v5
	v_div_fixup_f32 v0, v0, v7, v8
	global_store_dword v[1:2], v0, off
.LBB29_6:
	s_endpgm
	.section	.rodata,"a",@progbits
	.p2align	6, 0x0
	.amdhsa_kernel _ZL33flash_attn_stream_k_fixup_uniformILi256ELi2ELi1EEvPfPK15HIP_vector_typeIfLj2EEiiiiiiS1_IjLj3EES5_S5_
		.amdhsa_group_segment_fixed_size 0
		.amdhsa_private_segment_fixed_size 0
		.amdhsa_kernarg_size 76
		.amdhsa_user_sgpr_count 6
		.amdhsa_user_sgpr_private_segment_buffer 1
		.amdhsa_user_sgpr_dispatch_ptr 0
		.amdhsa_user_sgpr_queue_ptr 0
		.amdhsa_user_sgpr_kernarg_segment_ptr 1
		.amdhsa_user_sgpr_dispatch_id 0
		.amdhsa_user_sgpr_flat_scratch_init 0
		.amdhsa_user_sgpr_private_segment_size 0
		.amdhsa_uses_dynamic_stack 0
		.amdhsa_system_sgpr_private_segment_wavefront_offset 0
		.amdhsa_system_sgpr_workgroup_id_x 1
		.amdhsa_system_sgpr_workgroup_id_y 1
		.amdhsa_system_sgpr_workgroup_id_z 1
		.amdhsa_system_sgpr_workgroup_info 0
		.amdhsa_system_vgpr_workitem_id 0
		.amdhsa_next_free_vgpr 17
		.amdhsa_next_free_sgpr 20
		.amdhsa_reserve_vcc 1
		.amdhsa_reserve_flat_scratch 0
		.amdhsa_float_round_mode_32 0
		.amdhsa_float_round_mode_16_64 0
		.amdhsa_float_denorm_mode_32 3
		.amdhsa_float_denorm_mode_16_64 3
		.amdhsa_dx10_clamp 1
		.amdhsa_ieee_mode 1
		.amdhsa_fp16_overflow 0
		.amdhsa_exception_fp_ieee_invalid_op 0
		.amdhsa_exception_fp_denorm_src 0
		.amdhsa_exception_fp_ieee_div_zero 0
		.amdhsa_exception_fp_ieee_overflow 0
		.amdhsa_exception_fp_ieee_underflow 0
		.amdhsa_exception_fp_ieee_inexact 0
		.amdhsa_exception_int_div_zero 0
	.end_amdhsa_kernel
	.section	.text._ZL33flash_attn_stream_k_fixup_uniformILi256ELi2ELi1EEvPfPK15HIP_vector_typeIfLj2EEiiiiiiS1_IjLj3EES5_S5_,"axG",@progbits,_ZL33flash_attn_stream_k_fixup_uniformILi256ELi2ELi1EEvPfPK15HIP_vector_typeIfLj2EEiiiiiiS1_IjLj3EES5_S5_,comdat
.Lfunc_end29:
	.size	_ZL33flash_attn_stream_k_fixup_uniformILi256ELi2ELi1EEvPfPK15HIP_vector_typeIfLj2EEiiiiiiS1_IjLj3EES5_S5_, .Lfunc_end29-_ZL33flash_attn_stream_k_fixup_uniformILi256ELi2ELi1EEvPfPK15HIP_vector_typeIfLj2EEiiiiiiS1_IjLj3EES5_S5_
                                        ; -- End function
	.set _ZL33flash_attn_stream_k_fixup_uniformILi256ELi2ELi1EEvPfPK15HIP_vector_typeIfLj2EEiiiiiiS1_IjLj3EES5_S5_.num_vgpr, 17
	.set _ZL33flash_attn_stream_k_fixup_uniformILi256ELi2ELi1EEvPfPK15HIP_vector_typeIfLj2EEiiiiiiS1_IjLj3EES5_S5_.num_agpr, 0
	.set _ZL33flash_attn_stream_k_fixup_uniformILi256ELi2ELi1EEvPfPK15HIP_vector_typeIfLj2EEiiiiiiS1_IjLj3EES5_S5_.numbered_sgpr, 20
	.set _ZL33flash_attn_stream_k_fixup_uniformILi256ELi2ELi1EEvPfPK15HIP_vector_typeIfLj2EEiiiiiiS1_IjLj3EES5_S5_.num_named_barrier, 0
	.set _ZL33flash_attn_stream_k_fixup_uniformILi256ELi2ELi1EEvPfPK15HIP_vector_typeIfLj2EEiiiiiiS1_IjLj3EES5_S5_.private_seg_size, 0
	.set _ZL33flash_attn_stream_k_fixup_uniformILi256ELi2ELi1EEvPfPK15HIP_vector_typeIfLj2EEiiiiiiS1_IjLj3EES5_S5_.uses_vcc, 1
	.set _ZL33flash_attn_stream_k_fixup_uniformILi256ELi2ELi1EEvPfPK15HIP_vector_typeIfLj2EEiiiiiiS1_IjLj3EES5_S5_.uses_flat_scratch, 0
	.set _ZL33flash_attn_stream_k_fixup_uniformILi256ELi2ELi1EEvPfPK15HIP_vector_typeIfLj2EEiiiiiiS1_IjLj3EES5_S5_.has_dyn_sized_stack, 0
	.set _ZL33flash_attn_stream_k_fixup_uniformILi256ELi2ELi1EEvPfPK15HIP_vector_typeIfLj2EEiiiiiiS1_IjLj3EES5_S5_.has_recursion, 0
	.set _ZL33flash_attn_stream_k_fixup_uniformILi256ELi2ELi1EEvPfPK15HIP_vector_typeIfLj2EEiiiiiiS1_IjLj3EES5_S5_.has_indirect_call, 0
	.section	.AMDGPU.csdata,"",@progbits
; Kernel info:
; codeLenInByte = 836
; TotalNumSgprs: 24
; NumVgprs: 17
; ScratchSize: 0
; MemoryBound: 0
; FloatMode: 240
; IeeeMode: 1
; LDSByteSize: 0 bytes/workgroup (compile time only)
; SGPRBlocks: 2
; VGPRBlocks: 4
; NumSGPRsForWavesPerEU: 24
; NumVGPRsForWavesPerEU: 17
; Occupancy: 10
; WaveLimiterHint : 0
; COMPUTE_PGM_RSRC2:SCRATCH_EN: 0
; COMPUTE_PGM_RSRC2:USER_SGPR: 6
; COMPUTE_PGM_RSRC2:TRAP_HANDLER: 0
; COMPUTE_PGM_RSRC2:TGID_X_EN: 1
; COMPUTE_PGM_RSRC2:TGID_Y_EN: 1
; COMPUTE_PGM_RSRC2:TGID_Z_EN: 1
; COMPUTE_PGM_RSRC2:TIDIG_COMP_CNT: 0
	.section	.text._ZL33flash_attn_stream_k_fixup_generalILi256ELi2ELi1EEvPfPK15HIP_vector_typeIfLj2EEiiiiS1_IjLj3EES5_S5_S5_,"axG",@progbits,_ZL33flash_attn_stream_k_fixup_generalILi256ELi2ELi1EEvPfPK15HIP_vector_typeIfLj2EEiiiiS1_IjLj3EES5_S5_S5_,comdat
	.globl	_ZL33flash_attn_stream_k_fixup_generalILi256ELi2ELi1EEvPfPK15HIP_vector_typeIfLj2EEiiiiS1_IjLj3EES5_S5_S5_ ; -- Begin function _ZL33flash_attn_stream_k_fixup_generalILi256ELi2ELi1EEvPfPK15HIP_vector_typeIfLj2EEiiiiS1_IjLj3EES5_S5_S5_
	.p2align	8
	.type	_ZL33flash_attn_stream_k_fixup_generalILi256ELi2ELi1EEvPfPK15HIP_vector_typeIfLj2EEiiiiS1_IjLj3EES5_S5_S5_,@function
_ZL33flash_attn_stream_k_fixup_generalILi256ELi2ELi1EEvPfPK15HIP_vector_typeIfLj2EEiiiiS1_IjLj3EES5_S5_S5_: ; @_ZL33flash_attn_stream_k_fixup_generalILi256ELi2ELi1EEvPfPK15HIP_vector_typeIfLj2EEiiiiS1_IjLj3EES5_S5_S5_
; %bb.0:
	s_load_dwordx4 s[0:3], s[4:5], 0x10
	s_load_dword s22, s[4:5], 0x50
	s_mov_b32 s12, 0
	s_waitcnt lgkmcnt(0)
	s_mul_hi_i32 s13, s3, s6
	s_cmp_lg_u64 s[12:13], 0
	s_mul_i32 s9, s3, s6
	s_cbranch_scc0 .LBB30_20
; %bb.1:
	s_add_u32 s10, s22, 0
	s_addc_u32 s11, 0, 0
	s_xor_b64 s[10:11], s[10:11], 0
	v_cvt_f32_u32_e32 v1, s10
	v_cvt_f32_u32_e32 v2, s11
	s_sub_u32 s12, 0, s10
	s_subb_u32 s18, 0, s11
	v_madmk_f32 v1, v2, 0x4f800000, v1
	v_rcp_f32_e32 v1, v1
	v_mul_f32_e32 v1, 0x5f7ffffc, v1
	v_mul_f32_e32 v2, 0x2f800000, v1
	v_trunc_f32_e32 v2, v2
	v_madmk_f32 v1, v2, 0xcf800000, v1
	v_cvt_u32_f32_e32 v2, v2
	v_cvt_u32_f32_e32 v1, v1
	v_readfirstlane_b32 s19, v2
	v_readfirstlane_b32 s14, v1
	s_mul_i32 s15, s12, s19
	s_mul_hi_u32 s21, s12, s14
	s_mul_i32 s20, s18, s14
	s_add_i32 s15, s21, s15
	s_add_i32 s15, s15, s20
	s_mul_i32 s23, s12, s14
	s_mul_i32 s21, s14, s15
	s_mul_hi_u32 s24, s14, s23
	s_mul_hi_u32 s20, s14, s15
	s_add_u32 s21, s24, s21
	s_addc_u32 s20, 0, s20
	s_mul_hi_u32 s25, s19, s23
	s_mul_i32 s23, s19, s23
	s_add_u32 s21, s21, s23
	s_mul_hi_u32 s24, s19, s15
	s_addc_u32 s20, s20, s25
	s_addc_u32 s21, s24, 0
	s_mul_i32 s15, s19, s15
	s_add_u32 s15, s20, s15
	s_addc_u32 s20, 0, s21
	s_add_u32 s21, s14, s15
	s_cselect_b64 s[14:15], -1, 0
	s_cmp_lg_u64 s[14:15], 0
	s_addc_u32 s19, s19, s20
	s_mul_i32 s14, s12, s19
	s_mul_hi_u32 s15, s12, s21
	s_add_i32 s14, s15, s14
	s_mul_i32 s18, s18, s21
	s_add_i32 s14, s14, s18
	s_mul_i32 s12, s12, s21
	s_mul_hi_u32 s18, s19, s12
	s_mul_i32 s20, s19, s12
	s_mul_i32 s24, s21, s14
	s_mul_hi_u32 s12, s21, s12
	s_mul_hi_u32 s23, s21, s14
	s_add_u32 s12, s12, s24
	s_addc_u32 s23, 0, s23
	s_add_u32 s12, s12, s20
	s_mul_hi_u32 s15, s19, s14
	s_addc_u32 s12, s23, s18
	s_addc_u32 s15, s15, 0
	s_mul_i32 s14, s19, s14
	s_add_u32 s12, s12, s14
	s_addc_u32 s18, 0, s15
	s_add_u32 s20, s21, s12
	s_cselect_b64 s[14:15], -1, 0
	s_cmp_lg_u64 s[14:15], 0
	s_addc_u32 s18, s19, s18
	s_ashr_i32 s14, s13, 31
	s_add_u32 s12, s9, s14
	s_mov_b32 s15, s14
	s_addc_u32 s13, s13, s14
	s_xor_b64 s[12:13], s[12:13], s[14:15]
	s_mul_i32 s21, s12, s18
	s_mul_hi_u32 s23, s12, s20
	s_mul_hi_u32 s19, s12, s18
	s_add_u32 s21, s23, s21
	s_addc_u32 s19, 0, s19
	s_mul_hi_u32 s24, s13, s20
	s_mul_i32 s20, s13, s20
	s_add_u32 s20, s21, s20
	s_mul_hi_u32 s23, s13, s18
	s_addc_u32 s19, s19, s24
	s_addc_u32 s20, s23, 0
	s_mul_i32 s18, s13, s18
	s_add_u32 s23, s19, s18
	s_addc_u32 s24, 0, s20
	s_mul_i32 s18, s10, s24
	s_mul_hi_u32 s19, s10, s23
	s_add_i32 s18, s19, s18
	s_mul_i32 s19, s11, s23
	s_add_i32 s25, s18, s19
	s_sub_i32 s20, s13, s25
	s_mul_i32 s18, s10, s23
	s_sub_u32 s12, s12, s18
	s_cselect_b64 s[18:19], -1, 0
	s_cmp_lg_u64 s[18:19], 0
	s_subb_u32 s26, s20, s11
	s_sub_u32 s27, s12, s10
	s_cselect_b64 s[20:21], -1, 0
	s_cmp_lg_u64 s[20:21], 0
	s_subb_u32 s20, s26, 0
	s_cmp_ge_u32 s20, s11
	s_cselect_b32 s21, -1, 0
	s_cmp_ge_u32 s27, s10
	s_cselect_b32 s26, -1, 0
	s_cmp_eq_u32 s20, s11
	s_cselect_b32 s20, s26, s21
	s_add_u32 s21, s23, 1
	s_addc_u32 s26, s24, 0
	s_add_u32 s27, s23, 2
	s_addc_u32 s28, s24, 0
	s_cmp_lg_u32 s20, 0
	s_cselect_b32 s20, s27, s21
	s_cselect_b32 s21, s28, s26
	s_cmp_lg_u64 s[18:19], 0
	s_subb_u32 s13, s13, s25
	s_cmp_ge_u32 s13, s11
	s_cselect_b32 s18, -1, 0
	s_cmp_ge_u32 s12, s10
	s_cselect_b32 s10, -1, 0
	s_cmp_eq_u32 s13, s11
	s_cselect_b32 s10, s10, s18
	s_cmp_lg_u32 s10, 0
	s_cselect_b32 s11, s21, s24
	s_cselect_b32 s10, s20, s23
	s_xor_b64 s[12:13], s[14:15], 0
	s_xor_b64 s[10:11], s[10:11], s[12:13]
	s_sub_u32 s10, s10, s12
	s_load_dwordx4 s[12:15], s[4:5], 0x44
	s_cbranch_execnz .LBB30_3
.LBB30_2:
	v_cvt_f32_u32_e32 v1, s22
	s_sub_i32 s10, 0, s22
	v_rcp_iflag_f32_e32 v1, v1
	v_mul_f32_e32 v1, 0x4f7ffffe, v1
	v_cvt_u32_f32_e32 v1, v1
	v_readfirstlane_b32 s11, v1
	s_mul_i32 s10, s10, s11
	s_mul_hi_u32 s10, s11, s10
	s_add_i32 s11, s11, s10
	s_mul_hi_u32 s10, s9, s11
	s_waitcnt lgkmcnt(0)
	s_mul_i32 s15, s10, s22
	s_sub_i32 s9, s9, s15
	s_add_i32 s11, s10, 1
	s_sub_i32 s15, s9, s22
	s_cmp_ge_u32 s9, s22
	s_cselect_b32 s10, s11, s10
	s_cselect_b32 s9, s15, s9
	s_add_i32 s11, s10, 1
	s_cmp_ge_u32 s9, s22
	s_cselect_b32 s10, s11, s10
.LBB30_3:
	s_add_i32 s9, s6, 1
	s_mul_hi_i32 s21, s3, s9
	s_mov_b32 s20, 0
	s_cmp_lg_u64 s[20:21], 0
	s_mul_i32 s9, s3, s9
	s_cbranch_scc0 .LBB30_21
; %bb.4:
	s_add_u32 s16, s22, 0
	s_addc_u32 s17, 0, 0
	s_xor_b64 s[18:19], s[16:17], 0
	v_cvt_f32_u32_e32 v1, s18
	v_cvt_f32_u32_e32 v2, s19
	s_sub_u32 s11, 0, s18
	s_waitcnt lgkmcnt(0)
	s_subb_u32 s15, 0, s19
	v_madmk_f32 v1, v2, 0x4f800000, v1
	v_rcp_f32_e32 v1, v1
	v_mul_f32_e32 v1, 0x5f7ffffc, v1
	v_mul_f32_e32 v2, 0x2f800000, v1
	v_trunc_f32_e32 v2, v2
	v_madmk_f32 v1, v2, 0xcf800000, v1
	v_cvt_u32_f32_e32 v2, v2
	v_cvt_u32_f32_e32 v1, v1
	v_readfirstlane_b32 s20, v2
	v_readfirstlane_b32 s23, v1
	s_mul_i32 s24, s11, s20
	s_mul_hi_u32 s26, s11, s23
	s_mul_i32 s25, s15, s23
	s_add_i32 s24, s26, s24
	s_add_i32 s24, s24, s25
	s_mul_i32 s27, s11, s23
	s_mul_i32 s26, s23, s24
	s_mul_hi_u32 s28, s23, s27
	s_mul_hi_u32 s25, s23, s24
	s_add_u32 s26, s28, s26
	s_addc_u32 s25, 0, s25
	s_mul_hi_u32 s29, s20, s27
	s_mul_i32 s27, s20, s27
	s_add_u32 s26, s26, s27
	s_mul_hi_u32 s28, s20, s24
	s_addc_u32 s25, s25, s29
	s_addc_u32 s26, s28, 0
	s_mul_i32 s24, s20, s24
	s_add_u32 s24, s25, s24
	s_addc_u32 s26, 0, s26
	s_add_u32 s23, s23, s24
	s_cselect_b64 s[24:25], -1, 0
	s_cmp_lg_u64 s[24:25], 0
	s_addc_u32 s20, s20, s26
	s_mul_i32 s24, s11, s20
	s_mul_hi_u32 s25, s11, s23
	s_add_i32 s24, s25, s24
	s_mul_i32 s15, s15, s23
	s_add_i32 s24, s24, s15
	s_mul_i32 s11, s11, s23
	s_mul_hi_u32 s25, s20, s11
	s_mul_i32 s26, s20, s11
	s_mul_i32 s28, s23, s24
	s_mul_hi_u32 s11, s23, s11
	s_mul_hi_u32 s27, s23, s24
	s_add_u32 s11, s11, s28
	s_addc_u32 s27, 0, s27
	s_add_u32 s11, s11, s26
	s_mul_hi_u32 s15, s20, s24
	s_addc_u32 s11, s27, s25
	s_addc_u32 s15, s15, 0
	s_mul_i32 s24, s20, s24
	s_add_u32 s11, s11, s24
	s_addc_u32 s15, 0, s15
	s_add_u32 s11, s23, s11
	s_cselect_b64 s[24:25], -1, 0
	s_cmp_lg_u64 s[24:25], 0
	s_addc_u32 s15, s20, s15
	s_ashr_i32 s24, s21, 31
	s_add_u32 s20, s9, s24
	s_mov_b32 s25, s24
	s_addc_u32 s21, s21, s24
	s_xor_b64 s[20:21], s[20:21], s[24:25]
	s_mul_i32 s26, s20, s15
	s_mul_hi_u32 s27, s20, s11
	s_mul_hi_u32 s23, s20, s15
	s_add_u32 s26, s27, s26
	s_addc_u32 s23, 0, s23
	s_mul_hi_u32 s28, s21, s11
	s_mul_i32 s11, s21, s11
	s_add_u32 s11, s26, s11
	s_mul_hi_u32 s27, s21, s15
	s_addc_u32 s11, s23, s28
	s_addc_u32 s23, s27, 0
	s_mul_i32 s15, s21, s15
	s_add_u32 s11, s11, s15
	s_addc_u32 s15, 0, s23
	s_mul_i32 s23, s18, s15
	s_mul_hi_u32 s26, s18, s11
	s_add_i32 s23, s26, s23
	s_mul_i32 s26, s19, s11
	s_add_i32 s23, s23, s26
	s_sub_i32 s28, s21, s23
	s_mul_i32 s26, s18, s11
	s_sub_u32 s20, s20, s26
	s_cselect_b64 s[26:27], -1, 0
	s_cmp_lg_u64 s[26:27], 0
	s_subb_u32 s30, s28, s19
	s_sub_u32 s31, s20, s18
	s_cselect_b64 s[28:29], -1, 0
	s_cmp_lg_u64 s[28:29], 0
	s_subb_u32 s28, s30, 0
	s_cmp_ge_u32 s28, s19
	s_cselect_b32 s29, -1, 0
	s_cmp_ge_u32 s31, s18
	s_cselect_b32 s30, -1, 0
	s_cmp_eq_u32 s28, s19
	s_cselect_b32 s28, s30, s29
	s_add_u32 s29, s11, 1
	s_addc_u32 s30, s15, 0
	s_add_u32 s31, s11, 2
	s_addc_u32 s33, s15, 0
	s_cmp_lg_u32 s28, 0
	s_cselect_b32 s28, s31, s29
	s_cselect_b32 s29, s33, s30
	s_cmp_lg_u64 s[26:27], 0
	s_subb_u32 s21, s21, s23
	s_cmp_ge_u32 s21, s19
	s_cselect_b32 s23, -1, 0
	s_cmp_ge_u32 s20, s18
	s_cselect_b32 s18, -1, 0
	s_cmp_eq_u32 s21, s19
	s_cselect_b32 s18, s18, s23
	s_cmp_lg_u32 s18, 0
	s_cselect_b32 s19, s29, s15
	s_cselect_b32 s18, s28, s11
	s_xor_b64 s[20:21], s[24:25], 0
	s_xor_b64 s[18:19], s[18:19], s[20:21]
	s_sub_u32 s18, s18, s20
	s_cbranch_execnz .LBB30_6
.LBB30_5:
	v_cvt_f32_u32_e32 v1, s22
	s_sub_i32 s11, 0, s22
	v_rcp_iflag_f32_e32 v1, v1
	v_mul_f32_e32 v1, 0x4f7ffffe, v1
	v_cvt_u32_f32_e32 v1, v1
	s_waitcnt lgkmcnt(0)
	v_readfirstlane_b32 s15, v1
	s_mul_i32 s11, s11, s15
	s_mul_hi_u32 s11, s15, s11
	s_add_i32 s15, s15, s11
	s_mul_hi_u32 s11, s9, s15
	s_mul_i32 s16, s11, s22
	s_sub_i32 s9, s9, s16
	s_add_i32 s15, s11, 1
	s_sub_i32 s16, s9, s22
	s_cmp_ge_u32 s9, s22
	s_cselect_b32 s11, s15, s11
	s_cselect_b32 s9, s16, s9
	s_add_i32 s15, s11, 1
	s_cmp_ge_u32 s9, s22
	s_cselect_b32 s18, s15, s11
.LBB30_6:
	s_cmp_eq_u32 s10, s18
	s_waitcnt lgkmcnt(0)
	s_mul_hi_u32 s9, s10, s12
	s_cselect_b64 s[16:17], -1, 0
	s_add_i32 s9, s9, s10
	s_lshr_b32 s11, s9, s13
	s_mul_i32 s9, s11, s14
	s_cmp_eq_u32 s9, s10
	s_mul_hi_u32 s9, s18, s12
	s_cselect_b64 s[20:21], -1, 0
	s_add_i32 s9, s9, s18
	s_lshr_b32 s9, s9, s13
	s_cmp_eq_u32 s11, s9
	s_mul_i32 s9, s9, s14
	s_cselect_b64 s[24:25], -1, 0
	s_cmp_lg_u32 s9, s18
	s_cselect_b64 s[18:19], -1, 0
	s_and_b64 s[18:19], s[24:25], s[18:19]
	s_or_b64 s[16:17], s[16:17], s[20:21]
	s_or_b64 s[16:17], s[16:17], s[18:19]
	s_and_b64 vcc, exec, s[16:17]
	s_cbranch_vccnz .LBB30_23
; %bb.7:
	s_load_dwordx8 s[24:31], s[4:5], 0x20
	s_load_dword s15, s[4:5], 0x40
	s_waitcnt lgkmcnt(0)
	s_mul_hi_u32 s9, s10, s24
	s_add_i32 s9, s9, s10
	s_lshr_b32 s9, s9, s25
	s_mul_i32 s16, s9, s26
	s_sub_i32 s16, s10, s16
	s_mul_hi_u32 s17, s16, s27
	s_add_i32 s17, s16, s17
	s_lshr_b32 s24, s17, s28
	s_mul_i32 s17, s24, s29
	s_sub_i32 s16, s16, s17
	;; [unrolled: 5-line block ×3, first 2 shown]
	s_mul_hi_u32 s16, s15, s12
	s_add_i32 s15, s15, s16
	s_lshr_b32 s25, s15, s13
	s_lshl_b32 s15, s25, 1
	s_add_i32 s15, s15, s7
	s_cmp_lt_i32 s15, s0
	s_cselect_b64 s[16:17], -1, 0
	s_add_i32 s15, s23, s8
	s_cmp_lt_i32 s15, s2
	s_cselect_b64 s[18:19], -1, 0
	s_and_b64 s[16:17], s[16:17], s[18:19]
	s_andn2_b64 vcc, exec, s[16:17]
	s_cbranch_vccnz .LBB30_23
; %bb.8:
	s_load_dwordx4 s[16:19], s[4:5], 0x0
	s_mov_b32 s4, 0
	s_lshl_b32 s20, s22, 3
	s_mov_b32 s21, s4
	s_add_i32 s15, s7, s8
	s_lshl_b64 s[20:21], s[20:21], 2
	s_waitcnt lgkmcnt(0)
	s_add_u32 s20, s18, s20
	s_mul_i32 s0, s9, s0
	s_addc_u32 s21, s19, s21
	s_add_i32 s0, s0, s7
	s_mul_i32 s0, s0, s1
	s_mul_i32 s24, s24, s2
	s_add_i32 s0, s0, s8
	s_add_i32 s0, s0, s24
	s_mul_i32 s2, s1, s25
	s_add_i32 s0, s0, s23
	s_lshl_b32 s2, s2, 9
	s_lshl_b32 s0, s0, 8
	s_add_i32 s2, s2, s0
	v_or_b32_e32 v1, s2, v0
	v_ashrrev_i32_e32 v2, 31, v1
	v_lshlrev_b64 v[1:2], 2, v[1:2]
	v_mov_b32_e32 v3, s17
	v_add_co_u32_e32 v1, vcc, s16, v1
	v_addc_co_u32_e32 v2, vcc, v3, v2, vcc
	global_load_dword v3, v[1:2], off
	v_cvt_f32_u32_e32 v4, s22
	s_lshl_b32 s0, s6, 1
	s_add_i32 s0, s0, s15
	s_ashr_i32 s1, s0, 31
	s_lshl_b64 s[0:1], s[0:1], 3
	v_rcp_iflag_f32_e32 v4, v4
	s_add_u32 s0, s18, s0
	s_addc_u32 s1, s19, s1
	s_load_dwordx2 s[0:1], s[0:1], 0x0
	v_mul_f32_e32 v4, 0x4f7ffffe, v4
	v_cvt_u32_f32_e32 v4, v4
	s_add_i32 s24, s6, -1
	v_lshl_or_b32 v0, s15, 8, v0
	s_waitcnt lgkmcnt(0)
	v_mov_b32_e32 v6, s1
	v_mov_b32_e32 v7, s0
	s_mov_b32 s2, 0x3fb8aa3b
	s_mov_b32 s16, 0xc2ce8ed0
	s_mov_b32 s17, 0x42b17218
	s_mov_b32 s23, 0xc1a00000
	v_mov_b32_e32 v5, 0x7f800000
	s_mul_hi_i32 s5, s24, s3
	s_cmp_lg_u64 s[4:5], 0
	s_mul_i32 s8, s24, s3
	s_cbranch_scc0 .LBB30_19
.LBB30_9:
	s_add_u32 s0, s22, 0
	s_addc_u32 s1, 0, 0
	s_xor_b64 s[0:1], s[0:1], 0
	v_cvt_f32_u32_e32 v8, s0
	v_cvt_f32_u32_e32 v9, s1
	s_sub_u32 s9, 0, s0
	s_subb_u32 s25, 0, s1
	v_mac_f32_e32 v8, 0x4f800000, v9
	v_rcp_f32_e32 v8, v8
	v_mul_f32_e32 v8, 0x5f7ffffc, v8
	v_mul_f32_e32 v9, 0x2f800000, v8
	v_trunc_f32_e32 v9, v9
	v_mac_f32_e32 v8, 0xcf800000, v9
	v_cvt_u32_f32_e32 v9, v9
	v_cvt_u32_f32_e32 v8, v8
	v_readfirstlane_b32 s26, v9
	v_readfirstlane_b32 s6, v8
	s_mul_i32 s7, s9, s26
	s_mul_hi_u32 s28, s9, s6
	s_mul_i32 s27, s25, s6
	s_add_i32 s7, s28, s7
	s_mul_i32 s29, s9, s6
	s_add_i32 s7, s7, s27
	s_mul_i32 s28, s6, s7
	s_mul_hi_u32 s30, s6, s29
	s_mul_hi_u32 s27, s6, s7
	s_add_u32 s28, s30, s28
	s_addc_u32 s27, 0, s27
	s_mul_hi_u32 s31, s26, s29
	s_mul_i32 s29, s26, s29
	s_add_u32 s28, s28, s29
	s_mul_hi_u32 s30, s26, s7
	s_addc_u32 s27, s27, s31
	s_addc_u32 s28, s30, 0
	s_mul_i32 s7, s26, s7
	s_add_u32 s7, s27, s7
	s_addc_u32 s27, 0, s28
	s_add_u32 s28, s6, s7
	s_cselect_b64 s[6:7], -1, 0
	s_cmp_lg_u64 s[6:7], 0
	s_addc_u32 s26, s26, s27
	s_mul_i32 s6, s9, s26
	s_mul_hi_u32 s7, s9, s28
	s_add_i32 s6, s7, s6
	s_mul_i32 s25, s25, s28
	s_add_i32 s6, s6, s25
	s_mul_i32 s9, s9, s28
	s_mul_hi_u32 s25, s26, s9
	s_mul_i32 s27, s26, s9
	s_mul_i32 s30, s28, s6
	s_mul_hi_u32 s9, s28, s9
	s_mul_hi_u32 s29, s28, s6
	s_add_u32 s9, s9, s30
	s_addc_u32 s29, 0, s29
	s_add_u32 s9, s9, s27
	s_mul_hi_u32 s7, s26, s6
	s_addc_u32 s9, s29, s25
	s_addc_u32 s7, s7, 0
	s_mul_i32 s6, s26, s6
	s_add_u32 s6, s9, s6
	s_addc_u32 s9, 0, s7
	s_add_u32 s25, s28, s6
	s_cselect_b64 s[6:7], -1, 0
	s_cmp_lg_u64 s[6:7], 0
	s_addc_u32 s9, s26, s9
	s_ashr_i32 s6, s5, 31
	s_add_u32 s26, s8, s6
	s_mov_b32 s7, s6
	s_addc_u32 s27, s5, s6
	s_xor_b64 s[26:27], s[26:27], s[6:7]
	s_mul_i32 s28, s26, s9
	s_mul_hi_u32 s29, s26, s25
	s_mul_hi_u32 s5, s26, s9
	s_add_u32 s28, s29, s28
	s_addc_u32 s5, 0, s5
	s_mul_hi_u32 s30, s27, s25
	s_mul_i32 s25, s27, s25
	s_add_u32 s25, s28, s25
	s_mul_hi_u32 s29, s27, s9
	s_addc_u32 s5, s5, s30
	s_addc_u32 s25, s29, 0
	s_mul_i32 s9, s27, s9
	s_add_u32 s5, s5, s9
	s_addc_u32 s9, 0, s25
	s_mul_i32 s25, s0, s9
	s_mul_hi_u32 s28, s0, s5
	s_add_i32 s25, s28, s25
	s_mul_i32 s28, s1, s5
	s_add_i32 s25, s25, s28
	s_sub_i32 s30, s27, s25
	s_mul_i32 s28, s0, s5
	s_sub_u32 s26, s26, s28
	s_cselect_b64 s[28:29], -1, 0
	s_cmp_lg_u64 s[28:29], 0
	s_subb_u32 s33, s30, s1
	s_sub_u32 s34, s26, s0
	s_cselect_b64 s[30:31], -1, 0
	s_cmp_lg_u64 s[30:31], 0
	s_subb_u32 s30, s33, 0
	s_cmp_ge_u32 s30, s1
	s_cselect_b32 s31, -1, 0
	s_cmp_ge_u32 s34, s0
	s_cselect_b32 s33, -1, 0
	s_cmp_eq_u32 s30, s1
	s_cselect_b32 s30, s33, s31
	s_add_u32 s31, s5, 1
	s_addc_u32 s33, s9, 0
	s_add_u32 s34, s5, 2
	s_addc_u32 s35, s9, 0
	s_cmp_lg_u32 s30, 0
	s_cselect_b32 s30, s34, s31
	s_cselect_b32 s31, s35, s33
	s_cmp_lg_u64 s[28:29], 0
	s_subb_u32 s25, s27, s25
	s_cmp_ge_u32 s25, s1
	s_cselect_b32 s27, -1, 0
	s_cmp_ge_u32 s26, s0
	s_cselect_b32 s0, -1, 0
	s_cmp_eq_u32 s25, s1
	s_cselect_b32 s0, s0, s27
	s_cmp_lg_u32 s0, 0
	s_cselect_b32 s1, s31, s9
	s_cselect_b32 s0, s30, s5
	s_xor_b64 s[6:7], s[6:7], 0
	s_xor_b64 s[0:1], s[0:1], s[6:7]
	s_sub_u32 s6, s0, s6
	s_cbranch_execnz .LBB30_11
.LBB30_10:
	s_sub_i32 s0, 0, s22
	v_readfirstlane_b32 s1, v4
	s_mul_i32 s0, s0, s1
	s_mul_hi_u32 s0, s1, s0
	s_add_i32 s1, s1, s0
	s_mul_hi_u32 s0, s8, s1
	s_mul_i32 s5, s0, s22
	s_sub_i32 s5, s8, s5
	s_add_i32 s1, s0, 1
	s_sub_i32 s6, s5, s22
	s_cmp_ge_u32 s5, s22
	s_cselect_b32 s0, s1, s0
	s_cselect_b32 s5, s6, s5
	s_add_i32 s1, s0, 1
	s_cmp_ge_u32 s5, s22
	s_cselect_b32 s6, s1, s0
.LBB30_11:
	s_cmp_lg_u32 s10, s6
	s_mov_b64 s[8:9], -1
                                        ; implicit-def: $sgpr0_sgpr1
                                        ; implicit-def: $vgpr10
                                        ; implicit-def: $vgpr8
                                        ; implicit-def: $vgpr9
                                        ; implicit-def: $sgpr5
                                        ; implicit-def: $sgpr7
	s_cbranch_scc1 .LBB30_14
; %bb.12:
	s_andn2_b64 vcc, exec, s[8:9]
	s_cbranch_vccz .LBB30_17
.LBB30_13:
	s_andn2_b64 vcc, exec, s[0:1]
	s_cbranch_vccnz .LBB30_18
	s_branch .LBB30_22
.LBB30_14:
	s_add_i32 s0, s24, s22
	s_lshl_b32 s0, s0, 1
	s_add_i32 s0, s0, s15
	s_mov_b32 s1, s4
	s_lshl_b64 s[0:1], s[0:1], 3
	s_add_u32 s8, s18, s0
	s_mul_hi_u32 s0, s6, s12
	s_addc_u32 s9, s19, s1
	s_add_i32 s0, s0, s6
	s_lshr_b32 s5, s0, s13
	s_mul_i32 s0, s5, s14
	s_cmp_eq_u32 s0, s6
	s_cselect_b64 s[0:1], -1, 0
	s_cmp_lt_u32 s5, s11
	s_cselect_b64 s[26:27], -1, 0
	s_or_b64 s[26:27], s[26:27], s[0:1]
	s_mov_b64 s[0:1], -1
	s_and_b64 vcc, exec, s[26:27]
	s_mov_b32 s5, s24
	s_mov_b32 s7, s10
	s_cbranch_vccnz .LBB30_16
; %bb.15:
	s_add_i32 s5, s24, -1
	s_mov_b64 s[0:1], 0
	s_mov_b32 s7, s6
.LBB30_16:
	v_lshl_add_u32 v8, s24, 9, v0
	v_ashrrev_i32_e32 v9, 31, v8
	v_lshlrev_b64 v[8:9], 2, v[8:9]
	v_mov_b32_e32 v10, s21
	v_add_co_u32_e32 v8, vcc, s20, v8
	v_addc_co_u32_e32 v9, vcc, v10, v9, vcc
	global_load_dword v10, v[8:9], off
	s_load_dwordx2 s[8:9], s[8:9], 0x0
	v_max_f32_e32 v8, v7, v7
	s_waitcnt lgkmcnt(0)
	v_max_f32_e64 v9, s8, s8
	v_max_f32_e32 v8, v8, v9
	v_sub_f32_e32 v9, v7, v8
	v_sub_f32_e32 v11, s8, v8
	v_mul_f32_e32 v12, 0x3fb8aa3b, v9
	v_mul_f32_e32 v13, 0x3fb8aa3b, v11
	v_fma_f32 v14, v9, s2, -v12
	v_rndne_f32_e32 v15, v12
	v_fma_f32 v16, v11, s2, -v13
	v_rndne_f32_e32 v17, v13
	v_fmac_f32_e32 v14, 0x32a5705f, v9
	v_sub_f32_e32 v12, v12, v15
	v_fmac_f32_e32 v16, 0x32a5705f, v11
	v_sub_f32_e32 v13, v13, v17
	v_add_f32_e32 v12, v12, v14
	v_cvt_i32_f32_e32 v15, v15
	v_add_f32_e32 v13, v13, v16
	v_exp_f32_e32 v12, v12
	v_cvt_i32_f32_e32 v17, v17
	v_exp_f32_e32 v13, v13
	v_cmp_ngt_f32_e32 vcc, s16, v9
	v_ldexp_f32 v12, v12, v15
	v_cndmask_b32_e32 v12, 0, v12, vcc
	v_ldexp_f32 v13, v13, v17
	v_cmp_ngt_f32_e32 vcc, s16, v11
	v_cndmask_b32_e32 v13, 0, v13, vcc
	v_cmp_nlt_f32_e32 vcc, s17, v9
	v_cndmask_b32_e32 v12, v5, v12, vcc
	v_cmp_nlt_f32_e32 vcc, s17, v11
	v_cndmask_b32_e32 v13, v5, v13, vcc
	v_cmp_le_f32_e32 vcc, s23, v9
	v_cndmask_b32_e32 v12, 0, v12, vcc
	v_cmp_le_f32_e32 vcc, s23, v11
	v_cndmask_b32_e32 v11, 0, v13, vcc
	v_mul_f32_e32 v9, s9, v11
	v_fmac_f32_e32 v9, v6, v12
	s_waitcnt vmcnt(0)
	v_mul_f32_e32 v10, v10, v11
	v_fmac_f32_e32 v10, v3, v12
	s_cbranch_execnz .LBB30_13
.LBB30_17:
	s_add_i32 s5, s24, -1
	s_mov_b32 s7, s10
	v_mov_b32_e32 v9, v6
	v_mov_b32_e32 v8, v7
	s_waitcnt vmcnt(0)
	v_mov_b32_e32 v10, v3
	s_cbranch_execz .LBB30_22
.LBB30_18:
	s_mov_b32 s10, s7
	s_mov_b32 s24, s5
	v_mov_b32_e32 v6, v9
	v_mov_b32_e32 v7, v8
	s_waitcnt vmcnt(0)
	v_mov_b32_e32 v3, v10
	s_mul_hi_i32 s5, s24, s3
	s_cmp_lg_u64 s[4:5], 0
	s_mul_i32 s8, s24, s3
	s_cbranch_scc1 .LBB30_9
.LBB30_19:
                                        ; implicit-def: $sgpr6_sgpr7
	s_branch .LBB30_10
.LBB30_20:
                                        ; implicit-def: $sgpr10_sgpr11
	s_load_dwordx4 s[12:15], s[4:5], 0x44
	s_branch .LBB30_2
.LBB30_21:
                                        ; implicit-def: $sgpr18_sgpr19
	s_branch .LBB30_5
.LBB30_22:
	v_div_scale_f32 v0, s[0:1], v9, v9, v10
	s_waitcnt vmcnt(0)
	v_div_scale_f32 v3, vcc, v10, v9, v10
	v_rcp_f32_e32 v4, v0
	v_fma_f32 v5, -v0, v4, 1.0
	v_fmac_f32_e32 v4, v5, v4
	v_mul_f32_e32 v5, v3, v4
	v_fma_f32 v6, -v0, v5, v3
	v_fmac_f32_e32 v5, v6, v4
	v_fma_f32 v0, -v0, v5, v3
	v_div_fmas_f32 v0, v0, v4, v5
	v_div_fixup_f32 v0, v0, v9, v10
	global_store_dword v[1:2], v0, off
.LBB30_23:
	s_endpgm
	.section	.rodata,"a",@progbits
	.p2align	6, 0x0
	.amdhsa_kernel _ZL33flash_attn_stream_k_fixup_generalILi256ELi2ELi1EEvPfPK15HIP_vector_typeIfLj2EEiiiiS1_IjLj3EES5_S5_S5_
		.amdhsa_group_segment_fixed_size 0
		.amdhsa_private_segment_fixed_size 0
		.amdhsa_kernarg_size 336
		.amdhsa_user_sgpr_count 6
		.amdhsa_user_sgpr_private_segment_buffer 1
		.amdhsa_user_sgpr_dispatch_ptr 0
		.amdhsa_user_sgpr_queue_ptr 0
		.amdhsa_user_sgpr_kernarg_segment_ptr 1
		.amdhsa_user_sgpr_dispatch_id 0
		.amdhsa_user_sgpr_flat_scratch_init 0
		.amdhsa_user_sgpr_private_segment_size 0
		.amdhsa_uses_dynamic_stack 0
		.amdhsa_system_sgpr_private_segment_wavefront_offset 0
		.amdhsa_system_sgpr_workgroup_id_x 1
		.amdhsa_system_sgpr_workgroup_id_y 1
		.amdhsa_system_sgpr_workgroup_id_z 1
		.amdhsa_system_sgpr_workgroup_info 0
		.amdhsa_system_vgpr_workitem_id 0
		.amdhsa_next_free_vgpr 18
		.amdhsa_next_free_sgpr 36
		.amdhsa_reserve_vcc 1
		.amdhsa_reserve_flat_scratch 0
		.amdhsa_float_round_mode_32 0
		.amdhsa_float_round_mode_16_64 0
		.amdhsa_float_denorm_mode_32 3
		.amdhsa_float_denorm_mode_16_64 3
		.amdhsa_dx10_clamp 1
		.amdhsa_ieee_mode 1
		.amdhsa_fp16_overflow 0
		.amdhsa_exception_fp_ieee_invalid_op 0
		.amdhsa_exception_fp_denorm_src 0
		.amdhsa_exception_fp_ieee_div_zero 0
		.amdhsa_exception_fp_ieee_overflow 0
		.amdhsa_exception_fp_ieee_underflow 0
		.amdhsa_exception_fp_ieee_inexact 0
		.amdhsa_exception_int_div_zero 0
	.end_amdhsa_kernel
	.section	.text._ZL33flash_attn_stream_k_fixup_generalILi256ELi2ELi1EEvPfPK15HIP_vector_typeIfLj2EEiiiiS1_IjLj3EES5_S5_S5_,"axG",@progbits,_ZL33flash_attn_stream_k_fixup_generalILi256ELi2ELi1EEvPfPK15HIP_vector_typeIfLj2EEiiiiS1_IjLj3EES5_S5_S5_,comdat
.Lfunc_end30:
	.size	_ZL33flash_attn_stream_k_fixup_generalILi256ELi2ELi1EEvPfPK15HIP_vector_typeIfLj2EEiiiiS1_IjLj3EES5_S5_S5_, .Lfunc_end30-_ZL33flash_attn_stream_k_fixup_generalILi256ELi2ELi1EEvPfPK15HIP_vector_typeIfLj2EEiiiiS1_IjLj3EES5_S5_S5_
                                        ; -- End function
	.set _ZL33flash_attn_stream_k_fixup_generalILi256ELi2ELi1EEvPfPK15HIP_vector_typeIfLj2EEiiiiS1_IjLj3EES5_S5_S5_.num_vgpr, 18
	.set _ZL33flash_attn_stream_k_fixup_generalILi256ELi2ELi1EEvPfPK15HIP_vector_typeIfLj2EEiiiiS1_IjLj3EES5_S5_S5_.num_agpr, 0
	.set _ZL33flash_attn_stream_k_fixup_generalILi256ELi2ELi1EEvPfPK15HIP_vector_typeIfLj2EEiiiiS1_IjLj3EES5_S5_S5_.numbered_sgpr, 36
	.set _ZL33flash_attn_stream_k_fixup_generalILi256ELi2ELi1EEvPfPK15HIP_vector_typeIfLj2EEiiiiS1_IjLj3EES5_S5_S5_.num_named_barrier, 0
	.set _ZL33flash_attn_stream_k_fixup_generalILi256ELi2ELi1EEvPfPK15HIP_vector_typeIfLj2EEiiiiS1_IjLj3EES5_S5_S5_.private_seg_size, 0
	.set _ZL33flash_attn_stream_k_fixup_generalILi256ELi2ELi1EEvPfPK15HIP_vector_typeIfLj2EEiiiiS1_IjLj3EES5_S5_S5_.uses_vcc, 1
	.set _ZL33flash_attn_stream_k_fixup_generalILi256ELi2ELi1EEvPfPK15HIP_vector_typeIfLj2EEiiiiS1_IjLj3EES5_S5_S5_.uses_flat_scratch, 0
	.set _ZL33flash_attn_stream_k_fixup_generalILi256ELi2ELi1EEvPfPK15HIP_vector_typeIfLj2EEiiiiS1_IjLj3EES5_S5_S5_.has_dyn_sized_stack, 0
	.set _ZL33flash_attn_stream_k_fixup_generalILi256ELi2ELi1EEvPfPK15HIP_vector_typeIfLj2EEiiiiS1_IjLj3EES5_S5_S5_.has_recursion, 0
	.set _ZL33flash_attn_stream_k_fixup_generalILi256ELi2ELi1EEvPfPK15HIP_vector_typeIfLj2EEiiiiS1_IjLj3EES5_S5_S5_.has_indirect_call, 0
	.section	.AMDGPU.csdata,"",@progbits
; Kernel info:
; codeLenInByte = 2932
; TotalNumSgprs: 40
; NumVgprs: 18
; ScratchSize: 0
; MemoryBound: 0
; FloatMode: 240
; IeeeMode: 1
; LDSByteSize: 0 bytes/workgroup (compile time only)
; SGPRBlocks: 4
; VGPRBlocks: 4
; NumSGPRsForWavesPerEU: 40
; NumVGPRsForWavesPerEU: 18
; Occupancy: 10
; WaveLimiterHint : 0
; COMPUTE_PGM_RSRC2:SCRATCH_EN: 0
; COMPUTE_PGM_RSRC2:USER_SGPR: 6
; COMPUTE_PGM_RSRC2:TRAP_HANDLER: 0
; COMPUTE_PGM_RSRC2:TGID_X_EN: 1
; COMPUTE_PGM_RSRC2:TGID_Y_EN: 1
; COMPUTE_PGM_RSRC2:TGID_Z_EN: 1
; COMPUTE_PGM_RSRC2:TIDIG_COMP_CNT: 0
	.section	.text._ZL18flash_attn_ext_vecILi256ELi2EL9ggml_type2ELS0_8ELb1EEvPKcS2_S2_S2_S2_PKiPfP15HIP_vector_typeIfLj2EEffffjfiS6_IjLj3EEiiiiiiiiiiiliiliiiiil,"axG",@progbits,_ZL18flash_attn_ext_vecILi256ELi2EL9ggml_type2ELS0_8ELb1EEvPKcS2_S2_S2_S2_PKiPfP15HIP_vector_typeIfLj2EEffffjfiS6_IjLj3EEiiiiiiiiiiiliiliiiiil,comdat
	.globl	_ZL18flash_attn_ext_vecILi256ELi2EL9ggml_type2ELS0_8ELb1EEvPKcS2_S2_S2_S2_PKiPfP15HIP_vector_typeIfLj2EEffffjfiS6_IjLj3EEiiiiiiiiiiiliiliiiiil ; -- Begin function _ZL18flash_attn_ext_vecILi256ELi2EL9ggml_type2ELS0_8ELb1EEvPKcS2_S2_S2_S2_PKiPfP15HIP_vector_typeIfLj2EEffffjfiS6_IjLj3EEiiiiiiiiiiiliiliiiiil
	.p2align	8
	.type	_ZL18flash_attn_ext_vecILi256ELi2EL9ggml_type2ELS0_8ELb1EEvPKcS2_S2_S2_S2_PKiPfP15HIP_vector_typeIfLj2EEffffjfiS6_IjLj3EEiiiiiiiiiiiliiliiiiil,@function
_ZL18flash_attn_ext_vecILi256ELi2EL9ggml_type2ELS0_8ELb1EEvPKcS2_S2_S2_S2_PKiPfP15HIP_vector_typeIfLj2EEffffjfiS6_IjLj3EEiiiiiiiiiiiliiliiiiil: ; @_ZL18flash_attn_ext_vecILi256ELi2EL9ggml_type2ELS0_8ELb1EEvPKcS2_S2_S2_S2_PKiPfP15HIP_vector_typeIfLj2EEffffjfiS6_IjLj3EEiiiiiiiiiiiliiliiiiil
; %bb.0:
	s_load_dwordx2 s[22:23], s[4:5], 0x64
	s_load_dwordx2 s[52:53], s[4:5], 0x80
	;; [unrolled: 1-line block ×3, first 2 shown]
	s_add_u32 s0, s0, s9
	s_addc_u32 s1, s1, 0
	s_waitcnt lgkmcnt(0)
	v_cvt_f32_u32_e32 v2, s23
	s_sub_i32 s9, 0, s23
	s_load_dwordx4 s[16:19], s[4:5], 0x40
	s_load_dwordx2 s[26:27], s[4:5], 0x50
	v_mov_b32_e32 v92, 1.0
	v_rcp_iflag_f32_e32 v2, v2
	v_mul_f32_e32 v2, 0x4f7ffffe, v2
	v_cvt_u32_f32_e32 v2, v2
	v_readfirstlane_b32 s10, v2
	s_mul_i32 s9, s9, s10
	s_mul_hi_u32 s9, s10, s9
	s_add_i32 s10, s10, s9
	s_mul_hi_u32 s9, s8, s10
	s_mul_i32 s10, s9, s23
	s_sub_i32 s10, s8, s10
	s_add_i32 s11, s9, 1
	s_sub_i32 s12, s10, s23
	s_cmp_ge_u32 s10, s23
	s_cselect_b32 s9, s11, s9
	s_cselect_b32 s10, s12, s10
	s_add_i32 s11, s9, 1
	s_cmp_ge_u32 s10, s23
	s_cselect_b32 s33, s11, s9
	s_abs_i32 s9, s53
	v_cvt_f32_u32_e32 v2, s9
	s_mul_i32 s12, s33, s23
	s_sub_i32 s13, 0, s9
	s_sub_i32 s24, s8, s12
	v_rcp_iflag_f32_e32 v2, v2
	s_abs_i32 s11, s23
	s_xor_b32 s10, s23, s53
	s_ashr_i32 s10, s10, 31
	v_mul_f32_e32 v2, 0x4f7ffffe, v2
	v_cvt_u32_f32_e32 v2, v2
	v_readfirstlane_b32 s8, v2
	s_mul_i32 s13, s13, s8
	s_mul_hi_u32 s12, s8, s13
	s_add_i32 s8, s8, s12
	s_mul_hi_u32 s8, s11, s8
	s_mul_i32 s12, s8, s9
	s_sub_i32 s11, s11, s12
	s_add_i32 s13, s8, 1
	s_sub_i32 s12, s11, s9
	s_cmp_ge_u32 s11, s9
	s_cselect_b32 s8, s13, s8
	s_cselect_b32 s11, s12, s11
	s_add_i32 s12, s8, 1
	s_cmp_ge_u32 s11, s9
	s_cselect_b32 s8, s12, s8
	s_xor_b32 s8, s8, s10
	s_sub_i32 s35, s8, s10
	s_abs_i32 s30, s28
	s_abs_i32 s34, s35
	v_cvt_f32_u32_e32 v2, s30
	v_cvt_f32_u32_e32 v3, s34
	s_waitcnt lgkmcnt(0)
	v_cmp_le_f32_e64 s[8:9], s17, 0
	s_and_b64 vcc, exec, s[8:9]
	v_rcp_iflag_f32_e32 v2, v2
	v_rcp_iflag_f32_e32 v3, v3
	v_mul_f32_e32 v2, 0x4f7ffffe, v2
	v_mul_f32_e32 v3, 0x4f7ffffe, v3
	v_cvt_u32_f32_e32 v2, v2
	v_cvt_u32_f32_e32 v3, v3
	v_readfirstlane_b32 s53, v2
	v_readfirstlane_b32 s54, v3
	s_cbranch_vccnz .LBB31_2
; %bb.1:
	v_mov_b32_e32 v2, s26
	v_sub_co_u32_e32 v2, vcc, s24, v2
	v_mov_b32_e32 v3, s19
	v_mov_b32_e32 v4, s18
	s_add_i32 s8, s24, 1
	v_lshlrev_b32_e32 v2, 1, v2
	v_cndmask_b32_e32 v3, v3, v4, vcc
	v_or_b32_e32 v2, 1, v2
	v_mov_b32_e32 v4, s8
	v_cndmask_b32_e32 v2, v2, v4, vcc
	v_cvt_f32_i32_e32 v2, v2
	v_cmp_neq_f32_e32 vcc, 1.0, v3
	s_mov_b32 s8, 0x3f2aaaab
	s_movk_i32 s10, 0x204
	v_cndmask_b32_e32 v4, 1.0, v2, vcc
	v_cmp_neq_f32_e32 vcc, 0, v4
	v_cndmask_b32_e32 v5, 1.0, v3, vcc
	v_frexp_mant_f32_e64 v2, |v5|
	v_cmp_gt_f32_e32 vcc, s8, v2
	v_cndmask_b32_e64 v3, 1.0, 2.0, vcc
	v_mul_f32_e32 v2, v2, v3
	v_add_f32_e32 v3, 1.0, v2
	v_rcp_f32_e32 v6, v3
	v_add_f32_e32 v7, -1.0, v2
	v_add_f32_e32 v8, -1.0, v3
	v_sub_f32_e32 v2, v2, v8
	v_mul_f32_e32 v8, v7, v6
	v_mul_f32_e32 v9, v3, v8
	v_fma_f32 v3, v8, v3, -v9
	v_fmac_f32_e32 v3, v8, v2
	v_add_f32_e32 v2, v9, v3
	v_sub_f32_e32 v10, v7, v2
	v_sub_f32_e32 v9, v2, v9
	;; [unrolled: 1-line block ×5, first 2 shown]
	v_add_f32_e32 v2, v3, v2
	v_add_f32_e32 v2, v10, v2
	v_mul_f32_e32 v2, v6, v2
	v_add_f32_e32 v6, v8, v2
	v_sub_f32_e32 v3, v6, v8
	v_sub_f32_e32 v7, v2, v3
	v_mul_f32_e32 v2, v6, v6
	v_fma_f32 v3, v6, v6, -v2
	v_add_f32_e32 v8, v7, v7
	v_fmac_f32_e32 v3, v6, v8
	v_add_f32_e32 v8, v2, v3
	v_mov_b32_e32 v9, 0x3e91f4c4
	v_sub_f32_e32 v2, v8, v2
	v_fmac_f32_e32 v9, 0x3e76c4e1, v8
	v_mov_b32_e32 v10, 0x3ecccdef
	v_sub_f32_e32 v2, v3, v2
	v_mul_f32_e32 v3, v6, v8
	v_fmac_f32_e32 v10, v8, v9
	v_fma_f32 v9, v8, v6, -v3
	v_fmac_f32_e32 v9, v8, v7
	v_fmac_f32_e32 v9, v2, v6
	v_add_f32_e32 v11, v3, v9
	v_sub_f32_e32 v3, v11, v3
	v_sub_f32_e32 v9, v9, v3
	v_mul_f32_e32 v3, v8, v10
	v_fma_f32 v8, v8, v10, -v3
	v_fmac_f32_e32 v8, v2, v10
	v_add_f32_e32 v10, v3, v8
	v_sub_f32_e32 v2, v10, v3
	v_sub_f32_e32 v8, v8, v2
	v_cvt_f64_f32_e64 v[2:3], |v5|
	v_add_f32_e32 v12, 0x3f2aaaaa, v10
	v_add_f32_e32 v13, 0xbf2aaaaa, v12
	;; [unrolled: 1-line block ×3, first 2 shown]
	v_frexp_exp_i32_f64_e32 v2, v[2:3]
	v_sub_f32_e32 v10, v10, v13
	v_add_f32_e32 v3, v8, v10
	v_add_f32_e32 v8, v12, v3
	v_sub_f32_e32 v10, v12, v8
	v_add_f32_e32 v3, v3, v10
	v_mul_f32_e32 v10, v11, v8
	v_fma_f32 v12, v11, v8, -v10
	v_subbrev_co_u32_e32 v2, vcc, 0, v2, vcc
	v_cvt_f32_i32_e32 v2, v2
	v_fmac_f32_e32 v12, v11, v3
	s_mov_b32 s8, 0x3f317218
	v_fmac_f32_e32 v12, v9, v8
	v_mul_f32_e32 v3, 0x3f317218, v2
	v_fma_f32 v8, v2, s8, -v3
	v_fmac_f32_e32 v8, 0xb102e308, v2
	v_ldexp_f32 v2, v7, 1
	v_add_f32_e32 v7, v3, v8
	v_sub_f32_e32 v3, v7, v3
	v_ldexp_f32 v6, v6, 1
	v_sub_f32_e32 v3, v8, v3
	v_add_f32_e32 v8, v10, v12
	v_sub_f32_e32 v9, v8, v10
	v_add_f32_e32 v10, v6, v8
	v_sub_f32_e32 v9, v12, v9
	v_sub_f32_e32 v6, v10, v6
	;; [unrolled: 1-line block ×3, first 2 shown]
	v_add_f32_e32 v2, v2, v9
	v_add_f32_e32 v2, v2, v6
	;; [unrolled: 1-line block ×3, first 2 shown]
	v_sub_f32_e32 v8, v6, v10
	v_sub_f32_e32 v2, v2, v8
	v_add_f32_e32 v8, v7, v6
	v_sub_f32_e32 v9, v8, v7
	v_sub_f32_e32 v10, v8, v9
	v_sub_f32_e32 v7, v7, v10
	v_sub_f32_e32 v6, v6, v9
	v_add_f32_e32 v6, v6, v7
	v_add_f32_e32 v7, v3, v2
	v_sub_f32_e32 v9, v7, v3
	v_sub_f32_e32 v10, v7, v9
	;; [unrolled: 1-line block ×4, first 2 shown]
	v_add_f32_e32 v2, v2, v3
	v_add_f32_e32 v3, v7, v6
	;; [unrolled: 1-line block ×3, first 2 shown]
	v_sub_f32_e32 v7, v6, v8
	v_sub_f32_e32 v3, v3, v7
	v_add_f32_e32 v2, v2, v3
	v_add_f32_e32 v3, v6, v2
	v_sub_f32_e32 v6, v3, v6
	v_sub_f32_e32 v2, v2, v6
	v_mul_f32_e32 v6, v4, v3
	v_fma_f32 v3, v4, v3, -v6
	v_fmac_f32_e32 v3, v4, v2
	v_add_f32_e32 v2, v6, v3
	v_cmp_class_f32_e64 vcc, v6, s10
	v_sub_f32_e32 v7, v2, v6
	v_cndmask_b32_e32 v2, v2, v6, vcc
	s_mov_b32 s9, 0x42b17218
	v_mov_b32_e32 v6, 0x37000000
	v_cmp_eq_f32_e32 vcc, s9, v2
	v_cndmask_b32_e32 v6, 0, v6, vcc
	v_sub_f32_e32 v3, v3, v7
	v_sub_f32_e32 v7, v2, v6
	s_mov_b32 s11, 0x3fb8aa3b
	v_mul_f32_e32 v8, 0x3fb8aa3b, v7
	v_fma_f32 v9, v7, s11, -v8
	v_rndne_f32_e32 v10, v8
	v_fmac_f32_e32 v9, 0x32a5705f, v7
	v_sub_f32_e32 v8, v8, v10
	v_add_f32_e32 v8, v8, v9
	v_exp_f32_e32 v8, v8
	v_cvt_i32_f32_e32 v9, v10
	s_mov_b32 s8, 0x7f800000
	v_cmp_neq_f32_e64 vcc, |v2|, s8
	s_mov_b32 s8, 0xc2ce8ed0
	v_cndmask_b32_e32 v2, 0, v3, vcc
	v_ldexp_f32 v3, v8, v9
	v_cmp_ngt_f32_e32 vcc, s8, v7
	v_add_f32_e32 v2, v6, v2
	v_cndmask_b32_e32 v3, 0, v3, vcc
	v_mov_b32_e32 v6, 0x7f800000
	v_cmp_nlt_f32_e32 vcc, s9, v7
	v_cndmask_b32_e32 v3, v6, v3, vcc
	v_fma_f32 v2, v3, v2, v3
	v_cmp_class_f32_e64 vcc, v3, s10
	v_cndmask_b32_e32 v2, v2, v3, vcc
	v_trunc_f32_e32 v3, v4
	v_cmp_eq_f32_e32 vcc, v3, v4
	v_mul_f32_e32 v3, 0.5, v4
	v_trunc_f32_e32 v8, v3
	v_cmp_neq_f32_e64 s[8:9], v8, v3
	s_and_b64 s[8:9], vcc, s[8:9]
	v_cndmask_b32_e64 v3, 1.0, v5, s[8:9]
	s_brev_b32 s14, -2
	v_mov_b32_e32 v7, 0x7fc00000
	v_bfi_b32 v2, s14, v2, v3
	v_cndmask_b32_e32 v3, v7, v2, vcc
	v_cmp_gt_f32_e32 vcc, 0, v5
	v_cndmask_b32_e32 v2, v2, v3, vcc
	v_cmp_class_f32_e64 s[12:13], v5, s10
	v_cmp_eq_f32_e32 vcc, 0, v5
	v_cmp_gt_f32_e64 s[10:11], 0, v4
	s_xor_b64 s[10:11], s[10:11], vcc
	v_cndmask_b32_e64 v3, v6, 0, s[10:11]
	v_cndmask_b32_e64 v4, 0, v5, s[8:9]
	v_bfi_b32 v3, s14, v3, v4
	s_or_b64 vcc, vcc, s[12:13]
	v_cndmask_b32_e32 v2, v2, v3, vcc
	v_cmp_o_f32_e32 vcc, v5, v5
	v_cndmask_b32_e32 v92, v7, v2, vcc
.LBB31_2:
	s_load_dwordx16 s[36:51], s[4:5], 0x0
	s_lshl_b32 s26, s6, 1
	v_mov_b32_e32 v30, 0
	v_cmp_lt_u32_e64 s[20:21], 1, v1
	v_cmp_gt_u32_e32 vcc, 2, v1
	v_lshlrev_b32_e32 v88, 9, v1
	v_lshlrev_b32_e32 v90, 2, v0
	buffer_store_dword v30, off, s[0:3], 0
	buffer_store_dword v30, off, s[0:3], 0 offset:4
	buffer_store_dword v30, off, s[0:3], 0 offset:8
	;; [unrolled: 1-line block ×7, first 2 shown]
	s_and_saveexec_b64 s[18:19], vcc
	s_cbranch_execz .LBB31_17
; %bb.3:
	v_or_b32_e32 v2, s26, v1
	v_cmp_le_i32_e32 vcc, s22, v2
	v_lshl_add_u32 v4, v0, 3, v88
	v_sub_u32_e32 v2, 0, v90
	v_or_b32_e32 v6, v88, v0
	v_add_u32_e32 v7, v4, v2
	s_and_saveexec_b64 s[8:9], vcc
	s_xor_b64 s[8:9], exec, s[8:9]
	s_cbranch_execz .LBB31_7
; %bb.4:
	v_cmp_gt_u32_e32 vcc, 8, v0
	v_mov_b32_e32 v2, 0
	v_mad_u32_u24 v3, v0, 3, v6
	ds_write_b32 v7, v2
	ds_write_b32 v3, v2 offset:128
	s_and_saveexec_b64 s[10:11], vcc
; %bb.5:
	v_mov_b32_e32 v3, v2
	ds_write_b64 v4, v[2:3] offset:256
; %bb.6:
	s_or_b64 exec, exec, s[10:11]
                                        ; implicit-def: $vgpr7
                                        ; implicit-def: $vgpr6
.LBB31_7:
	s_andn2_saveexec_b64 s[8:9], s[8:9]
	s_cbranch_execz .LBB31_17
; %bb.8:
	s_load_dwordx4 s[8:11], s[4:5], 0x70
	s_waitcnt lgkmcnt(0)
	s_mul_i32 s10, s33, s10
	s_mul_i32 s11, s8, s26
	;; [unrolled: 1-line block ×3, first 2 shown]
	v_mul_lo_u32 v2, s8, v1
	s_add_i32 s8, s10, s11
	s_add_i32 s8, s8, s9
	s_ashr_i32 s9, s8, 31
	s_add_u32 s8, s36, s8
	s_addc_u32 s9, s37, s9
	v_ashrrev_i32_e32 v3, 31, v2
	v_mov_b32_e32 v4, s9
	v_add_co_u32_e32 v2, vcc, s8, v2
	v_addc_co_u32_e32 v3, vcc, v4, v3, vcc
	v_lshlrev_b32_e32 v4, 2, v90
	v_add_co_u32_e32 v2, vcc, v2, v4
	v_addc_co_u32_e32 v3, vcc, 0, v3, vcc
	global_load_dwordx4 v[16:19], v[2:3], off
	v_mbcnt_lo_u32_b32 v4, -1, 0
	v_mbcnt_hi_u32_b32 v4, -1, v4
	v_and_b32_e32 v5, 0x60, v4
	v_xor_b32_e32 v8, 4, v4
	v_add_u32_e32 v10, 32, v5
	v_cmp_lt_i32_e32 vcc, v8, v10
	v_cndmask_b32_e32 v5, v4, v8, vcc
	v_lshlrev_b32_e32 v8, 2, v5
	s_mov_b32 s10, 0x42fe0000
	s_waitcnt vmcnt(0)
	v_mul_f32_e32 v15, s16, v16
	v_mul_f32_e32 v12, s16, v17
	;; [unrolled: 1-line block ×4, first 2 shown]
	v_max_f32_e64 v9, |v15|, |v12|
	v_max3_f32 v13, v9, |v11|, |v5|
	ds_bpermute_b32 v14, v8, v13
	v_xor_b32_e32 v9, 2, v4
	v_cmp_lt_i32_e32 vcc, v9, v10
	v_cndmask_b32_e32 v9, v4, v9, vcc
	v_lshlrev_b32_e32 v9, 2, v9
	s_waitcnt lgkmcnt(0)
	v_max_f32_e32 v14, v14, v14
	v_max_f32_e32 v13, v13, v14
	ds_bpermute_b32 v14, v9, v13
	v_xor_b32_e32 v17, 1, v4
	v_cmp_lt_i32_e32 vcc, v17, v10
	v_cndmask_b32_e32 v4, v4, v17, vcc
	v_lshlrev_b32_e32 v10, 2, v4
	s_waitcnt lgkmcnt(0)
	v_max_f32_e32 v4, v14, v14
	v_max_f32_e32 v4, v13, v4
	ds_bpermute_b32 v13, v10, v4
	v_fma_f32 v16, s16, v16, v12
	v_fmac_f32_e32 v16, s16, v18
	v_fmac_f32_e32 v16, s16, v19
	s_waitcnt lgkmcnt(0)
	v_max_f32_e32 v13, v13, v13
	v_max_f32_e32 v4, v4, v13
	v_div_scale_f32 v13, s[8:9], s10, s10, v4
	v_div_scale_f32 v14, vcc, v4, s10, v4
	v_rcp_f32_e32 v17, v13
	v_fma_f32 v18, -v13, v17, 1.0
	v_fmac_f32_e32 v17, v18, v17
	v_mul_f32_e32 v18, v14, v17
	v_fma_f32 v19, -v13, v18, v14
	v_fmac_f32_e32 v18, v19, v17
	v_fma_f32 v13, -v13, v18, v14
	v_div_fmas_f32 v17, v13, v17, v18
	ds_bpermute_b32 v13, v8, v16
	s_waitcnt lgkmcnt(0)
	v_add_f32_e32 v13, v16, v13
	ds_bpermute_b32 v14, v9, v13
	v_mov_b32_e32 v16, 0
	s_waitcnt lgkmcnt(0)
	v_add_f32_e32 v13, v13, v14
	ds_bpermute_b32 v14, v10, v13
	v_div_fixup_f32 v4, v17, s10, v4
	v_cmp_neq_f32_e32 vcc, 0, v4
	s_and_saveexec_b64 s[14:15], vcc
	s_cbranch_execz .LBB31_10
; %bb.9:
	v_div_scale_f32 v16, s[8:9], v4, v4, v15
	v_div_scale_f32 v19, vcc, v15, v4, v15
	v_div_scale_f32 v17, s[8:9], v4, v4, v12
	v_div_scale_f32 v18, s[8:9], v4, v4, v11
	v_div_scale_f32 v20, s[8:9], v12, v4, v12
	v_div_scale_f32 v23, s[12:13], v4, v4, v5
	v_div_scale_f32 v21, s[10:11], v11, v4, v11
	s_brev_b32 s17, -2
	v_rcp_f32_e32 v22, v16
	v_rcp_f32_e32 v24, v17
	v_fma_f32 v26, -v16, v22, 1.0
	v_fmac_f32_e32 v22, v26, v22
	v_mul_f32_e32 v26, v19, v22
	v_fma_f32 v27, -v16, v26, v19
	v_fmac_f32_e32 v26, v27, v22
	v_fma_f32 v16, -v16, v26, v19
	v_div_fmas_f32 v16, v16, v22, v26
	v_div_scale_f32 v19, s[12:13], v5, v4, v5
	v_fma_f32 v22, -v17, v24, 1.0
	v_fmac_f32_e32 v24, v22, v24
	v_mul_f32_e32 v22, v20, v24
	v_fma_f32 v27, -v17, v22, v20
	v_fmac_f32_e32 v22, v27, v24
	v_rcp_f32_e32 v25, v18
	v_fma_f32 v17, -v17, v22, v20
	s_mov_b64 vcc, s[8:9]
	v_div_fmas_f32 v17, v17, v24, v22
	v_fma_f32 v26, -v18, v25, 1.0
	v_fmac_f32_e32 v25, v26, v25
	v_mul_f32_e32 v26, v21, v25
	v_fma_f32 v28, -v18, v26, v21
	v_div_fixup_f32 v15, v16, v4, v15
	v_trunc_f32_e32 v16, v15
	v_sub_f32_e32 v20, v15, v16
	v_cmp_ge_f32_e64 s[8:9], |v20|, 0.5
	v_cndmask_b32_e64 v20, 0, 1.0, s[8:9]
	v_bfi_b32 v15, s17, v20, v15
	v_add_f32_e32 v15, v16, v15
	v_rcp_f32_e32 v16, v23
	v_fmac_f32_e32 v26, v28, v25
	v_fma_f32 v18, -v18, v26, v21
	s_mov_b64 vcc, s[10:11]
	v_fma_f32 v20, -v23, v16, 1.0
	v_fmac_f32_e32 v16, v20, v16
	v_div_fmas_f32 v18, v18, v25, v26
	v_mul_f32_e32 v20, v19, v16
	v_fma_f32 v21, -v23, v20, v19
	v_fmac_f32_e32 v20, v21, v16
	v_fma_f32 v19, -v23, v20, v19
	s_mov_b64 vcc, s[12:13]
	v_div_fmas_f32 v16, v19, v16, v20
	v_div_fixup_f32 v12, v17, v4, v12
	v_trunc_f32_e32 v17, v12
	v_sub_f32_e32 v19, v12, v17
	v_cmp_ge_f32_e64 s[8:9], |v19|, 0.5
	v_cndmask_b32_e64 v19, 0, 1.0, s[8:9]
	v_bfi_b32 v12, s17, v19, v12
	v_add_f32_e32 v12, v17, v12
	v_cvt_i32_f32_e32 v15, v15
	v_cvt_i32_f32_e32 v12, v12
	v_div_fixup_f32 v11, v18, v4, v11
	v_trunc_f32_e32 v17, v11
	v_sub_f32_e32 v18, v11, v17
	v_cmp_ge_f32_e64 s[8:9], |v18|, 0.5
	v_cndmask_b32_e64 v18, 0, 1.0, s[8:9]
	v_bfi_b32 v11, s17, v18, v11
	v_div_fixup_f32 v5, v16, v4, v5
	v_trunc_f32_e32 v16, v5
	v_add_f32_e32 v11, v17, v11
	v_sub_f32_e32 v17, v5, v16
	v_cmp_ge_f32_e64 s[8:9], |v17|, 0.5
	v_cndmask_b32_e64 v17, 0, 1.0, s[8:9]
	v_cvt_i32_f32_e32 v11, v11
	v_bfi_b32 v5, s17, v17, v5
	v_add_f32_e32 v5, v16, v5
	v_cvt_i32_f32_e32 v5, v5
	v_and_b32_e32 v11, 0xff, v11
	v_lshlrev_b32_e32 v11, 16, v11
	v_lshl_or_b32 v5, v5, 24, v11
	v_mov_b32_e32 v11, 8
	v_lshlrev_b32_sdwa v11, v11, v12 dst_sel:DWORD dst_unused:UNUSED_PAD src0_sel:DWORD src1_sel:BYTE_0
	v_and_b32_e32 v12, 0xff, v15
	v_or3_b32 v16, v5, v11, v12
.LBB31_10:
	s_or_b64 exec, exec, s[14:15]
	v_and_b32_e32 v5, 7, v0
	v_cmp_eq_u32_e64 s[8:9], 0, v5
	ds_write_b32 v7, v16
	s_and_saveexec_b64 s[10:11], s[8:9]
	s_cbranch_execz .LBB31_12
; %bb.11:
	s_waitcnt lgkmcnt(1)
	v_add_f32_e32 v5, v13, v14
	ds_write_b64 v6, v[4:5] offset:256
.LBB31_12:
	s_or_b64 exec, exec, s[10:11]
	s_waitcnt lgkmcnt(1)
	global_load_dwordx4 v[12:15], v[2:3], off offset:512
	s_mov_b32 s12, 0x42fe0000
	s_waitcnt vmcnt(0)
	v_mul_f32_e32 v11, s16, v12
	v_mul_f32_e32 v5, s16, v13
	;; [unrolled: 1-line block ×4, first 2 shown]
	v_max_f32_e64 v2, |v11|, |v5|
	v_max3_f32 v2, v2, |v4|, |v3|
	ds_bpermute_b32 v13, v8, v2
	v_fma_f32 v12, s16, v12, v5
	v_fmac_f32_e32 v12, s16, v14
	v_fmac_f32_e32 v12, s16, v15
	ds_bpermute_b32 v8, v8, v12
	s_waitcnt lgkmcnt(1)
	v_max_f32_e32 v13, v13, v13
	v_max_f32_e32 v2, v2, v13
	ds_bpermute_b32 v13, v9, v2
	s_waitcnt lgkmcnt(1)
	v_add_f32_e32 v8, v12, v8
	ds_bpermute_b32 v9, v9, v8
	s_waitcnt lgkmcnt(1)
	v_max_f32_e32 v13, v13, v13
	v_max_f32_e32 v2, v2, v13
	ds_bpermute_b32 v13, v10, v2
	s_waitcnt lgkmcnt(1)
	v_add_f32_e32 v8, v8, v9
	ds_bpermute_b32 v9, v10, v8
	v_mov_b32_e32 v10, 0
	s_waitcnt lgkmcnt(1)
	v_max_f32_e32 v13, v13, v13
	v_max_f32_e32 v2, v2, v13
	v_div_scale_f32 v13, s[10:11], s12, s12, v2
	v_div_scale_f32 v16, vcc, v2, s12, v2
	v_rcp_f32_e32 v17, v13
	v_fma_f32 v14, -v13, v17, 1.0
	v_fmac_f32_e32 v17, v14, v17
	v_mul_f32_e32 v14, v16, v17
	v_fma_f32 v18, -v13, v14, v16
	v_fmac_f32_e32 v14, v18, v17
	v_fma_f32 v13, -v13, v14, v16
	v_div_fmas_f32 v13, v13, v17, v14
	v_div_fixup_f32 v2, v13, s12, v2
	v_cmp_neq_f32_e32 vcc, 0, v2
	s_and_saveexec_b64 s[16:17], vcc
	s_cbranch_execz .LBB31_14
; %bb.13:
	v_div_scale_f32 v10, s[10:11], v2, v2, v11
	v_div_scale_f32 v14, vcc, v11, v2, v11
	v_div_scale_f32 v12, s[10:11], v2, v2, v5
	v_div_scale_f32 v13, s[10:11], v2, v2, v4
	;; [unrolled: 1-line block ×5, first 2 shown]
	s_brev_b32 s25, -2
	v_rcp_f32_e32 v17, v10
	v_rcp_f32_e32 v19, v12
	v_fma_f32 v21, -v10, v17, 1.0
	v_fmac_f32_e32 v17, v21, v17
	v_mul_f32_e32 v21, v14, v17
	v_fma_f32 v22, -v10, v21, v14
	v_fmac_f32_e32 v21, v22, v17
	v_fma_f32 v10, -v10, v21, v14
	v_div_fmas_f32 v10, v10, v17, v21
	v_div_scale_f32 v14, s[14:15], v3, v2, v3
	v_fma_f32 v17, -v12, v19, 1.0
	v_fmac_f32_e32 v19, v17, v19
	v_mul_f32_e32 v17, v15, v19
	v_fma_f32 v22, -v12, v17, v15
	v_fmac_f32_e32 v17, v22, v19
	v_rcp_f32_e32 v20, v13
	v_fma_f32 v12, -v12, v17, v15
	s_mov_b64 vcc, s[10:11]
	v_div_fmas_f32 v12, v12, v19, v17
	v_fma_f32 v21, -v13, v20, 1.0
	v_fmac_f32_e32 v20, v21, v20
	v_mul_f32_e32 v21, v16, v20
	v_fma_f32 v23, -v13, v21, v16
	v_div_fixup_f32 v10, v10, v2, v11
	v_trunc_f32_e32 v11, v10
	v_sub_f32_e32 v15, v10, v11
	v_cmp_ge_f32_e64 s[10:11], |v15|, 0.5
	v_cndmask_b32_e64 v15, 0, 1.0, s[10:11]
	v_bfi_b32 v10, s25, v15, v10
	v_add_f32_e32 v10, v11, v10
	v_rcp_f32_e32 v11, v18
	v_fmac_f32_e32 v21, v23, v20
	v_fma_f32 v13, -v13, v21, v16
	s_mov_b64 vcc, s[12:13]
	v_fma_f32 v15, -v18, v11, 1.0
	v_fmac_f32_e32 v11, v15, v11
	v_div_fmas_f32 v13, v13, v20, v21
	v_mul_f32_e32 v15, v14, v11
	v_fma_f32 v16, -v18, v15, v14
	v_fmac_f32_e32 v15, v16, v11
	v_fma_f32 v14, -v18, v15, v14
	s_mov_b64 vcc, s[14:15]
	v_div_fmas_f32 v11, v14, v11, v15
	v_div_fixup_f32 v5, v12, v2, v5
	v_trunc_f32_e32 v12, v5
	v_sub_f32_e32 v14, v5, v12
	v_cmp_ge_f32_e64 s[10:11], |v14|, 0.5
	v_cndmask_b32_e64 v14, 0, 1.0, s[10:11]
	v_bfi_b32 v5, s25, v14, v5
	v_add_f32_e32 v5, v12, v5
	v_cvt_i32_f32_e32 v10, v10
	v_cvt_i32_f32_e32 v5, v5
	v_div_fixup_f32 v4, v13, v2, v4
	v_trunc_f32_e32 v12, v4
	v_sub_f32_e32 v13, v4, v12
	v_cmp_ge_f32_e64 s[10:11], |v13|, 0.5
	v_cndmask_b32_e64 v13, 0, 1.0, s[10:11]
	v_bfi_b32 v4, s25, v13, v4
	v_div_fixup_f32 v3, v11, v2, v3
	v_trunc_f32_e32 v11, v3
	v_add_f32_e32 v4, v12, v4
	v_sub_f32_e32 v12, v3, v11
	v_cmp_ge_f32_e64 s[10:11], |v12|, 0.5
	v_cndmask_b32_e64 v12, 0, 1.0, s[10:11]
	v_cvt_i32_f32_e32 v4, v4
	v_bfi_b32 v3, s25, v12, v3
	v_add_f32_e32 v3, v11, v3
	v_cvt_i32_f32_e32 v3, v3
	v_and_b32_e32 v4, 0xff, v4
	v_lshlrev_b32_e32 v4, 16, v4
	v_lshl_or_b32 v3, v3, 24, v4
	v_mov_b32_e32 v4, 8
	v_lshlrev_b32_sdwa v4, v4, v5 dst_sel:DWORD dst_unused:UNUSED_PAD src0_sel:DWORD src1_sel:BYTE_0
	v_and_b32_e32 v5, 0xff, v10
	v_or3_b32 v10, v3, v4, v5
.LBB31_14:
	s_or_b64 exec, exec, s[16:17]
	ds_write_b32 v7, v10 offset:128
	s_and_saveexec_b64 s[10:11], s[8:9]
	s_cbranch_execz .LBB31_16
; %bb.15:
	s_waitcnt lgkmcnt(1)
	v_add_f32_e32 v3, v8, v9
	ds_write_b64 v6, v[2:3] offset:288
.LBB31_16:
	s_or_b64 exec, exec, s[10:11]
.LBB31_17:
	s_or_b64 exec, exec, s[18:19]
	v_and_b32_e32 v34, 3, v0
	v_lshlrev_b32_e32 v2, 2, v34
	s_waitcnt vmcnt(0) lgkmcnt(0)
	s_barrier
	ds_read2_b32 v[50:51], v2 offset1:4
	ds_read2_b32 v[52:53], v2 offset0:8 offset1:12
	ds_read2_b32 v[54:55], v2 offset0:16 offset1:20
	;; [unrolled: 1-line block ×15, first 2 shown]
	ds_read_b128 v[2:5], v30 offset:256
	ds_read_b128 v[6:9], v30 offset:272
	;; [unrolled: 1-line block ×8, first 2 shown]
	s_cmp_eq_u64 s[46:47], 0
	s_mov_b32 s25, s52
	s_waitcnt lgkmcnt(0)
	s_barrier
	s_cbranch_scc1 .LBB31_19
; %bb.18:
	s_load_dword s8, s[4:5], 0xd0
	s_mov_b32 s9, 0
	s_waitcnt lgkmcnt(0)
	s_mul_i32 s8, s8, s33
	s_add_i32 s8, s8, s6
	s_lshl_b64 s[8:9], s[8:9], 2
	s_add_u32 s8, s46, s8
	s_addc_u32 s9, s47, s9
	s_load_dword s25, s[8:9], 0x0
.LBB31_19:
	v_lshlrev_b32_e32 v35, 5, v1
	v_add_u32_e32 v89, v35, v0
	s_lshl_b32 s28, s7, 7
	s_mov_b32 s31, 0
	s_waitcnt lgkmcnt(0)
	s_cmp_ge_i32 s28, s25
	v_mbcnt_lo_u32_b32 v95, -1, 0
	v_lshlrev_b32_e32 v91, 1, v89
	s_cbranch_scc1 .LBB31_71
; %bb.20:
	s_load_dwordx2 s[14:15], s[4:5], 0x8c
	s_load_dwordx4 s[16:19], s[4:5], 0x98
	s_sub_i32 s6, 0, s34
	s_mul_i32 s6, s6, s54
	s_mul_hi_u32 s6, s54, s6
	s_ashr_i32 s36, s33, 31
	s_abs_i32 s10, s24
	s_add_i32 s54, s54, s6
	s_waitcnt lgkmcnt(0)
	s_mul_hi_u32 s37, s16, s33
	s_mul_i32 s46, s16, s36
	s_sub_i32 s8, 0, s30
	s_mul_hi_u32 s11, s10, s54
	s_add_i32 s37, s37, s46
	s_mul_i32 s17, s17, s33
	s_mul_i32 s8, s8, s53
	s_add_i32 s37, s37, s17
	s_mul_i32 s17, s11, s34
	s_mul_hi_u32 s8, s53, s8
	s_ashr_i32 s13, s24, 31
	s_ashr_i32 s35, s35, 31
	s_sub_i32 s10, s10, s17
	s_abs_i32 s6, s33
	s_add_i32 s53, s53, s8
	s_xor_b32 s13, s13, s35
	s_add_i32 s17, s11, 1
	s_sub_i32 s35, s10, s34
	s_cmp_ge_u32 s10, s34
	s_cselect_b32 s11, s17, s11
	s_cselect_b32 s10, s35, s10
	s_add_i32 s17, s11, 1
	s_cmp_ge_u32 s10, s34
	s_cselect_b32 s10, s17, s11
	s_xor_b32 s10, s10, s13
	s_load_dwordx2 s[8:9], s[4:5], 0xa8
	s_sub_i32 s13, s10, s13
	s_mul_i32 s10, s13, s15
	s_mul_i32 s16, s16, s33
	s_ashr_i32 s11, s10, 31
	s_add_u32 s15, s38, s16
	s_addc_u32 s16, s39, s37
	s_add_u32 s15, s15, s10
	s_waitcnt lgkmcnt(0)
	s_mul_hi_u32 s34, s8, s33
	s_mul_i32 s35, s8, s36
	s_addc_u32 s16, s16, s11
	s_add_i32 s34, s34, s35
	s_mul_i32 s9, s9, s33
	s_mul_i32 s13, s13, s19
	s_add_i32 s34, s34, s9
	s_mul_i32 s8, s8, s33
	s_ashr_i32 s9, s13, 31
	s_add_u32 s8, s40, s8
	s_mul_hi_u32 s12, s6, s53
	s_addc_u32 s19, s41, s34
	s_add_u32 s13, s8, s13
	s_mul_i32 s12, s12, s30
	s_addc_u32 s19, s19, s9
	s_sub_i32 s6, s6, s12
	s_sub_i32 s8, s6, s30
	s_cmp_ge_u32 s6, s30
	s_cselect_b32 s6, s8, s6
	s_sub_i32 s8, s6, s30
	s_cmp_ge_u32 s6, s30
	s_load_dwordx2 s[10:11], s[4:5], 0xc8
	s_load_dword s17, s[4:5], 0xd4
	s_cselect_b32 s6, s8, s6
	s_xor_b32 s6, s6, s36
	s_sub_i32 s6, s6, s36
	v_mul_lo_u32 v110, v35, s18
	s_ashr_i32 s8, s6, 31
	s_waitcnt lgkmcnt(0)
	s_mul_i32 s8, s10, s8
	s_mul_hi_u32 s9, s10, s6
	s_add_i32 s8, s9, s8
	s_mul_i32 s9, s11, s6
	s_add_i32 s8, s8, s9
	s_mul_i32 s6, s10, s6
	v_add_u32_e32 v118, s18, v110
	s_add_u32 s6, s42, s6
	s_mul_i32 s9, s29, s26
	v_add_u32_e32 v120, s18, v118
	s_addc_u32 s8, s43, s8
	s_ashr_i32 s10, s9, 31
	v_add_u32_e32 v122, s18, v120
	s_add_u32 s6, s6, s9
	s_mov_b32 s29, s31
	v_add_u32_e32 v124, s18, v122
	s_addc_u32 s10, s8, s10
	s_lshl_b64 s[8:9], s[28:29], 1
	v_add_u32_e32 v126, s18, v124
	s_add_u32 s34, s6, s8
	v_add_u32_e32 v128, s18, v126
	s_addc_u32 s35, s10, s9
	s_mul_i32 s6, s18, s28
	v_add_u32_e32 v130, s18, v128
	s_add_u32 s6, s13, s6
	v_add_u32_e32 v132, s18, v130
	s_addc_u32 s29, s19, 0
	s_mul_i32 s8, s14, s28
	v_add_u32_e32 v134, s18, v132
	s_add_u32 s46, s15, s8
	v_and_b32_e32 v36, 0x7c, v0
	v_mbcnt_hi_u32_b32 v38, -1, v95
	v_add_u32_e32 v136, s18, v134
	s_addc_u32 s47, s16, 0
	v_add_u32_e32 v96, v35, v36
	v_and_b32_e32 v36, 0x7c, v38
	v_add_u32_e32 v138, s18, v136
	v_add_u32_e32 v36, 4, v36
	v_xor_b32_e32 v37, 2, v38
	s_cmp_lg_u64 s[42:43], 0
	v_add_u32_e32 v140, s18, v138
	v_cmp_lt_i32_e32 vcc, v37, v36
	s_cselect_b64 s[10:11], -1, 0
	v_mul_lo_u32 v100, v96, s14
	s_lshl_b32 s30, s17, 7
	v_add_u32_e32 v142, s18, v140
	v_cndmask_b32_e32 v37, v38, v37, vcc
	s_cmp_lt_i32 s26, s22
	v_add_u32_e32 v144, s18, v142
	v_lshlrev_b32_e32 v98, 2, v37
	v_xor_b32_e32 v37, 1, v38
	s_cselect_b64 s[12:13], -1, 0
	v_add_u32_e32 v146, s18, v144
	v_cmp_lt_i32_e32 vcc, v37, v36
	s_and_b64 s[36:37], s[10:11], s[12:13]
	s_or_b32 s12, s26, 1
	v_add_u32_e32 v148, s18, v146
	v_cndmask_b32_e32 v36, v38, v37, vcc
	s_cmp_lt_i32 s12, s22
	v_add_u32_e32 v102, s14, v100
	v_add_u32_e32 v150, s18, v148
	v_lshlrev_b32_e32 v99, 2, v36
	v_and_b32_e32 v36, 0x60, v38
	s_cselect_b64 s[12:13], -1, 0
	v_add_u32_e32 v104, s14, v102
	v_add_u32_e32 v152, s18, v150
	;; [unrolled: 1-line block ×3, first 2 shown]
	s_mul_i32 s42, s30, s14
	v_cmp_eq_u32_e64 s[8:9], 0, v34
	s_and_b64 s[38:39], s[10:11], s[12:13]
	v_cmp_eq_u32_e64 s[10:11], 1, v34
	v_cmp_eq_u32_e64 s[12:13], 2, v34
	v_add_u32_e32 v106, s14, v104
	v_cmp_eq_u32_e64 s[14:15], 3, v34
	v_xor_b32_e32 v34, 4, v38
	v_add_u32_e32 v154, s18, v152
	v_cmp_lt_i32_e32 vcc, v34, v39
	v_add_u32_e32 v156, s18, v154
	v_cndmask_b32_e32 v34, v38, v34, vcc
	v_add_u32_e32 v158, s18, v156
	v_lshlrev_b32_e32 v108, 2, v34
	v_xor_b32_e32 v34, 8, v38
	v_add_u32_e32 v160, s18, v158
	v_cmp_lt_i32_e32 vcc, v34, v39
	v_add_u32_e32 v162, s18, v160
	v_cndmask_b32_e32 v34, v38, v34, vcc
	v_add_u32_e32 v164, s18, v162
	v_lshlrev_b32_e32 v109, 2, v34
	;; [unrolled: 7-line block ×3, first 2 shown]
	v_add_u32_e32 v34, 0x80, v90
	s_ashr_i32 s16, s52, 31
	v_add_u32_e32 v172, s18, v170
	v_add_u32_e32 v36, s52, v96
	v_lshlrev_b32_e32 v112, 1, v35
	v_lshrrev_b32_e32 v116, 5, v34
	v_and_b32_e32 v117, 28, v34
	v_mov_b32_e32 v35, s16
	v_add_co_u32_e32 v34, vcc, s52, v96
	v_add_u32_e32 v174, s18, v172
	v_ashrrev_i32_e32 v37, 31, v36
	v_addc_co_u32_e32 v35, vcc, 0, v35, vcc
	v_add_u32_e32 v176, s18, v174
	v_lshlrev_b64 v[82:83], 1, v[36:37]
	v_lshlrev_b64 v[84:85], 1, v[34:35]
	v_add_u32_e32 v178, s18, v176
	v_and_b32_e32 v97, 12, v90
	v_mov_b32_e32 v93, 0
	s_mul_i32 s43, s30, s18
	v_ashrrev_i32_e32 v101, 31, v100
	v_ashrrev_i32_e32 v103, 31, v102
	;; [unrolled: 1-line block ×5, first 2 shown]
	v_bfe_u32 v114, v0, 3, 27
	v_and_b32_e32 v115, 28, v90
	v_ashrrev_i32_e32 v119, 31, v118
	v_ashrrev_i32_e32 v121, 31, v120
	;; [unrolled: 1-line block ×25, first 2 shown]
	s_mov_b32 s52, 0x3f200000
	s_mov_b32 s53, 0x3fb8aa3b
	;; [unrolled: 1-line block ×4, first 2 shown]
	s_brev_b32 s56, -2
	s_mov_b32 s57, 0x10001
	v_ashrrev_i32_e32 v169, 31, v168
	v_ashrrev_i32_e32 v171, 31, v170
	;; [unrolled: 1-line block ×6, first 2 shown]
	v_mov_b32_e32 v35, 0xfeffffff
	v_mov_b32_e32 v180, 0xbd5c1c4e
	;; [unrolled: 1-line block ×9, first 2 shown]
.LBB31_21:                              ; =>This Inner Loop Header: Depth=1
	v_mov_b32_e32 v37, s47
	v_add_co_u32_e32 v36, vcc, s46, v100
	v_addc_co_u32_e32 v37, vcc, v37, v101, vcc
	v_add_co_u32_e32 v38, vcc, v36, v97
	v_addc_co_u32_e32 v39, vcc, 0, v37, vcc
	global_load_dword v40, v[38:39], off offset:2
	global_load_dword v41, v[38:39], off offset:20
	;; [unrolled: 1-line block ×7, first 2 shown]
	s_nop 0
	global_load_dword v38, v[38:39], off offset:128
	s_nop 0
	global_load_ushort v186, v[36:37], off
	global_load_ushort v187, v[36:37], off offset:18
	global_load_ushort v188, v[36:37], off offset:36
	;; [unrolled: 1-line block ×7, first 2 shown]
	s_waitcnt vmcnt(15)
	v_and_b32_e32 v193, 0xf0f0f0f, v40
	v_lshrrev_b32_e32 v36, 4, v40
	v_and_b32_e32 v195, 0xf0f0f0f, v36
	v_dot4_i32_i8 v36, v193, v50, 0
	s_waitcnt vmcnt(14)
	v_and_b32_e32 v86, 0xf0f0f0f, v41
	v_lshrrev_b32_e32 v39, 4, v41
	v_cvt_f32_i32_e32 v36, v36
	s_waitcnt vmcnt(8)
	v_and_b32_e32 v37, 0xf0f0f0f, v38
	v_lshrrev_b32_e32 v38, 4, v38
	v_dot4_i32_i8 v201, v195, v51, 0
	v_and_b32_e32 v194, 0xf0f0f0f, v39
	v_and_b32_e32 v39, 0xf0f0f0f, v38
	v_dot4_i32_i8 v38, v86, v52, 0
	v_cvt_f32_i32_e32 v201, v201
	v_and_b32_e32 v48, 0xf0f0f0f, v42
	v_lshrrev_b32_e32 v41, 4, v42
	v_and_b32_e32 v46, 0xf0f0f0f, v43
	v_lshrrev_b32_e32 v43, 4, v43
	v_lshrrev_b32_e32 v196, 4, v47
	v_cvt_f32_i32_e32 v38, v38
	v_dot4_i32_i8 v202, v194, v53, 0
	v_and_b32_e32 v42, 0xf0f0f0f, v47
	v_and_b32_e32 v40, 0xf0f0f0f, v49
	v_lshrrev_b32_e32 v197, 4, v49
	v_and_b32_e32 v49, 0xf0f0f0f, v41
	v_and_b32_e32 v47, 0xf0f0f0f, v43
	;; [unrolled: 1-line block ×3, first 2 shown]
	v_dot4_i32_i8 v196, v48, v54, 0
	v_cvt_f32_i32_e32 v202, v202
	v_cvt_f32_i32_e32 v196, v196
	v_dot4_i32_i8 v203, v49, v55, 0
	v_fma_f32 v36, v2, v36, -v3
	v_and_b32_e32 v41, 0xf0f0f0f, v197
	v_dot4_i32_i8 v197, v46, v56, 0
	v_cvt_f32_i32_e32 v203, v203
	s_waitcnt vmcnt(7)
	v_fma_mix_f32 v36, v36, v186, 0 op_sel_hi:[0,1,0]
	v_fma_f32 v201, v2, v201, -v3
	v_and_b32_e32 v44, 0xf0f0f0f, v45
	v_lshrrev_b32_e32 v45, 4, v45
	v_dot4_i32_i8 v204, v47, v57, 0
	v_cvt_f32_i32_e32 v197, v197
	v_fma_f32 v38, v4, v38, -v5
	v_fma_mix_f32 v36, v201, v186, v36 op_sel_hi:[0,1,0]
	v_and_b32_e32 v45, 0xf0f0f0f, v45
	v_dot4_i32_i8 v198, v44, v58, 0
	v_cvt_f32_i32_e32 v204, v204
	v_fma_f32 v202, v4, v202, -v5
	s_waitcnt vmcnt(6)
	v_fma_mix_f32 v36, v38, v187, v36 op_sel_hi:[0,1,0]
	v_dot4_i32_i8 v205, v45, v59, 0
	v_cvt_f32_i32_e32 v198, v198
	v_fma_f32 v196, v6, v196, -v7
	v_fma_mix_f32 v36, v202, v187, v36 op_sel_hi:[0,1,0]
	v_dot4_i32_i8 v199, v42, v60, 0
	v_cvt_f32_i32_e32 v205, v205
	v_fma_f32 v203, v6, v203, -v7
	s_waitcnt vmcnt(5)
	v_fma_mix_f32 v36, v196, v188, v36 op_sel_hi:[0,1,0]
	v_dot4_i32_i8 v206, v43, v61, 0
	v_cvt_f32_i32_e32 v199, v199
	v_fma_f32 v197, v8, v197, -v9
	v_fma_mix_f32 v36, v203, v188, v36 op_sel_hi:[0,1,0]
	;; [unrolled: 9-line block ×3, first 2 shown]
	v_cvt_f32_i32_e32 v207, v207
	v_fma_f32 v205, v10, v205, -v11
	s_waitcnt vmcnt(3)
	v_fma_mix_f32 v36, v198, v190, v36 op_sel_hi:[0,1,0]
	v_dot4_i32_i8 v196, v37, v64, 0
	v_fma_f32 v199, v12, v199, -v13
	v_fma_mix_f32 v36, v205, v190, v36 op_sel_hi:[0,1,0]
	v_dot4_i32_i8 v197, v39, v65, 0
	v_cvt_f32_i32_e32 v196, v196
	v_fma_f32 v206, v12, v206, -v13
	s_waitcnt vmcnt(2)
	v_fma_mix_f32 v36, v199, v191, v36 op_sel_hi:[0,1,0]
	v_cvt_f32_i32_e32 v197, v197
	v_fma_mix_f32 v36, v206, v191, v36 op_sel_hi:[0,1,0]
	v_fma_f32 v38, v14, v200, -v15
	v_fma_f32 v207, v14, v207, -v15
	s_waitcnt vmcnt(1)
	v_fma_mix_f32 v36, v38, v192, v36 op_sel_hi:[0,1,0]
	v_fma_mix_f32 v36, v207, v192, v36 op_sel_hi:[0,1,0]
	v_fma_f32 v196, v16, v196, -v17
	v_fma_f32 v38, v16, v197, -v17
	s_waitcnt vmcnt(0)
	v_fma_mix_f32 v36, v196, v87, v36 op_sel_hi:[0,1,0]
	v_fma_mix_f32 v36, v38, v87, v36 op_sel_hi:[0,1,0]
	ds_bpermute_b32 v38, v98, v36
	s_waitcnt lgkmcnt(0)
	v_add_f32_e32 v36, v36, v38
	ds_bpermute_b32 v38, v99, v36
	s_waitcnt lgkmcnt(0)
	v_add_f32_e32 v36, v36, v38
	v_cmp_nlt_f32_e64 s[16:17], |v36|, s52
                                        ; implicit-def: $vgpr38
	s_and_saveexec_b64 s[18:19], s[16:17]
	s_xor_b64 s[16:17], exec, s[18:19]
	s_cbranch_execz .LBB31_23
; %bb.22:                               ;   in Loop: Header=BB31_21 Depth=1
	v_add_f32_e64 v38, |v36|, |v36|
	v_mul_f32_e32 v196, 0x3fb8aa3b, v38
	v_rndne_f32_e32 v197, v196
	v_sub_f32_e32 v198, v196, v197
	v_fma_f32 v196, v38, s53, -v196
	v_fmac_f32_e32 v196, 0x32a5705f, v38
	v_add_f32_e32 v196, v198, v196
	v_cvt_i32_f32_e32 v197, v197
	v_exp_f32_e32 v196, v196
	v_cmp_ngt_f32_e32 vcc, s54, v38
	v_ldexp_f32 v196, v196, v197
	v_cndmask_b32_e32 v196, 0, v196, vcc
	v_cmp_nlt_f32_e32 vcc, s55, v38
	v_cndmask_b32_e32 v38, v183, v196, vcc
	v_add_f32_e32 v38, 1.0, v38
	v_rcp_f32_e32 v38, v38
	v_fma_f32 v38, v38, -2.0, 1.0
.LBB31_23:                              ;   in Loop: Header=BB31_21 Depth=1
	s_andn2_saveexec_b64 s[16:17], s[16:17]
; %bb.24:                               ;   in Loop: Header=BB31_21 Depth=1
	v_mul_f32_e32 v38, v36, v36
	v_mov_b32_e32 v196, 0x3ca908c9
	v_fmac_f32_e32 v196, 0xbbbac73d, v38
	v_fma_f32 v196, v38, v196, v180
	v_fma_f32 v196, v38, v196, v181
	;; [unrolled: 1-line block ×3, first 2 shown]
	v_mul_f32_e64 v196, |v36|, v196
	v_fma_f32 v38, v38, v196, |v36|
; %bb.25:                               ;   in Loop: Header=BB31_21 Depth=1
	s_or_b64 exec, exec, s[16:17]
	v_bfi_b32 v36, s56, v38, v36
	v_cndmask_b32_e64 v38, 0, 1, s[36:37]
	v_mul_f32_e32 v36, s27, v36
	v_cmp_ne_u32_e64 s[16:17], 1, v38
	s_andn2_b64 vcc, exec, s[36:37]
	v_lshlrev_b32_e32 v38, 1, v96
	s_cbranch_vccnz .LBB31_27
; %bb.26:                               ;   in Loop: Header=BB31_21 Depth=1
	global_load_ushort v196, v38, s[34:35]
	s_waitcnt vmcnt(0)
	v_fma_mix_f32 v36, v92, v196, v36 op_sel_hi:[0,1,0]
.LBB31_27:                              ;   in Loop: Header=BB31_21 Depth=1
	v_dot4_i32_i8 v193, v193, v66, 0
	v_cvt_f32_i32_e32 v193, v193
	v_dot4_i32_i8 v195, v195, v67, 0
	v_cvt_f32_f16_e32 v186, v186
	v_cvt_f32_i32_e32 v195, v195
	v_dot4_i32_i8 v86, v86, v68, 0
	v_cvt_f32_i32_e32 v86, v86
	v_dot4_i32_i8 v194, v194, v69, 0
	v_cvt_f32_f16_e32 v187, v187
	v_cvt_f32_i32_e32 v194, v194
	v_dot4_i32_i8 v48, v48, v70, 0
	v_fma_f32 v193, v18, v193, -v19
	v_cvt_f32_i32_e32 v48, v48
	v_dot4_i32_i8 v49, v49, v71, 0
	v_cvt_f32_f16_e32 v188, v188
	v_fma_f32 v193, v193, v186, 0
	v_fma_f32 v195, v18, v195, -v19
	v_cvt_f32_i32_e32 v49, v49
	v_dot4_i32_i8 v46, v46, v72, 0
	v_fmac_f32_e32 v193, v195, v186
	v_fma_f32 v86, v20, v86, -v21
	v_cvt_f32_i32_e32 v46, v46
	v_dot4_i32_i8 v47, v47, v73, 0
	v_cvt_f32_f16_e32 v189, v189
	v_fmac_f32_e32 v193, v86, v187
	v_fma_f32 v86, v20, v194, -v21
	v_cvt_f32_i32_e32 v47, v47
	v_dot4_i32_i8 v44, v44, v74, 0
	v_fmac_f32_e32 v193, v86, v187
	v_fma_f32 v48, v22, v48, -v23
	v_cvt_f32_i32_e32 v44, v44
	v_dot4_i32_i8 v45, v45, v75, 0
	v_cvt_f32_f16_e32 v190, v190
	v_fmac_f32_e32 v193, v48, v188
	;; [unrolled: 9-line block ×5, first 2 shown]
	v_fma_f32 v42, v28, v43, -v29
	v_cvt_f32_i32_e32 v39, v39
	v_fmac_f32_e32 v193, v42, v191
	v_fma_f32 v40, v30, v40, -v31
	v_fmac_f32_e32 v193, v40, v192
	v_fma_f32 v40, v30, v41, -v31
	;; [unrolled: 2-line block ×4, first 2 shown]
	v_fmac_f32_e32 v193, v37, v87
	ds_bpermute_b32 v37, v98, v193
	s_waitcnt lgkmcnt(0)
	v_add_f32_e32 v37, v193, v37
	ds_bpermute_b32 v39, v99, v37
	s_waitcnt lgkmcnt(0)
	v_add_f32_e32 v37, v37, v39
	v_cmp_nlt_f32_e64 s[18:19], |v37|, s52
                                        ; implicit-def: $vgpr39
	s_and_saveexec_b64 s[40:41], s[18:19]
	s_xor_b64 s[18:19], exec, s[40:41]
	s_cbranch_execz .LBB31_29
; %bb.28:                               ;   in Loop: Header=BB31_21 Depth=1
	v_add_f32_e64 v39, |v37|, |v37|
	v_mul_f32_e32 v40, 0x3fb8aa3b, v39
	v_rndne_f32_e32 v41, v40
	v_sub_f32_e32 v42, v40, v41
	v_fma_f32 v40, v39, s53, -v40
	v_fmac_f32_e32 v40, 0x32a5705f, v39
	v_add_f32_e32 v40, v42, v40
	v_cvt_i32_f32_e32 v41, v41
	v_exp_f32_e32 v40, v40
	v_cmp_ngt_f32_e32 vcc, s54, v39
	v_ldexp_f32 v40, v40, v41
	v_cndmask_b32_e32 v40, 0, v40, vcc
	v_cmp_nlt_f32_e32 vcc, s55, v39
	v_cndmask_b32_e32 v39, v183, v40, vcc
	v_add_f32_e32 v39, 1.0, v39
	v_rcp_f32_e32 v39, v39
	v_fma_f32 v39, v39, -2.0, 1.0
.LBB31_29:                              ;   in Loop: Header=BB31_21 Depth=1
	s_andn2_saveexec_b64 s[18:19], s[18:19]
; %bb.30:                               ;   in Loop: Header=BB31_21 Depth=1
	v_mul_f32_e32 v39, v37, v37
	v_mov_b32_e32 v40, 0x3ca908c9
	v_fmac_f32_e32 v40, 0xbbbac73d, v39
	v_fma_f32 v40, v39, v40, v180
	v_fma_f32 v40, v39, v40, v181
	;; [unrolled: 1-line block ×3, first 2 shown]
	v_mul_f32_e64 v40, |v37|, v40
	v_fma_f32 v39, v39, v40, |v37|
; %bb.31:                               ;   in Loop: Header=BB31_21 Depth=1
	s_or_b64 exec, exec, s[18:19]
	v_bfi_b32 v37, s56, v39, v37
	v_cndmask_b32_e64 v39, 0, 1, s[38:39]
	v_cmp_ne_u32_e64 s[18:19], 1, v39
	s_andn2_b64 vcc, exec, s[38:39]
	v_mul_f32_e32 v37, s27, v37
	s_cbranch_vccnz .LBB31_33
; %bb.32:                               ;   in Loop: Header=BB31_21 Depth=1
	v_mov_b32_e32 v40, s35
	v_add_co_u32_e32 v39, vcc, s34, v82
	v_addc_co_u32_e32 v40, vcc, v40, v83, vcc
	global_load_ushort v39, v[39:40], off
	s_waitcnt vmcnt(0)
	v_fma_mix_f32 v37, v92, v39, v37 op_sel_hi:[0,1,0]
.LBB31_33:                              ;   in Loop: Header=BB31_21 Depth=1
	v_mov_b32_e32 v40, s47
	v_add_co_u32_e32 v39, vcc, s46, v102
	v_addc_co_u32_e32 v40, vcc, v40, v103, vcc
	v_add_co_u32_e32 v41, vcc, v39, v97
	v_addc_co_u32_e32 v42, vcc, 0, v40, vcc
	global_load_dword v43, v[41:42], off offset:2
	global_load_dword v44, v[41:42], off offset:20
	;; [unrolled: 1-line block ×7, first 2 shown]
	s_nop 0
	global_load_dword v41, v[41:42], off offset:128
	s_nop 0
	global_load_ushort v188, v[39:40], off
	global_load_ushort v189, v[39:40], off offset:18
	global_load_ushort v190, v[39:40], off offset:36
	;; [unrolled: 1-line block ×7, first 2 shown]
	s_waitcnt vmcnt(15)
	v_and_b32_e32 v195, 0xf0f0f0f, v43
	v_lshrrev_b32_e32 v39, 4, v43
	v_and_b32_e32 v197, 0xf0f0f0f, v39
	v_dot4_i32_i8 v39, v195, v50, 0
	s_waitcnt vmcnt(14)
	v_and_b32_e32 v186, 0xf0f0f0f, v44
	v_lshrrev_b32_e32 v43, 4, v44
	s_waitcnt vmcnt(12)
	v_lshrrev_b32_e32 v198, 4, v46
	v_cvt_f32_i32_e32 v39, v39
	v_dot4_i32_i8 v204, v197, v51, 0
	s_waitcnt vmcnt(10)
	v_and_b32_e32 v44, 0xf0f0f0f, v49
	v_lshrrev_b32_e32 v199, 4, v49
	v_and_b32_e32 v196, 0xf0f0f0f, v43
	v_and_b32_e32 v49, 0xf0f0f0f, v198
	v_dot4_i32_i8 v198, v186, v52, 0
	v_cvt_f32_i32_e32 v204, v204
	v_and_b32_e32 v86, 0xf0f0f0f, v45
	v_lshrrev_b32_e32 v45, 4, v45
	v_cvt_f32_i32_e32 v198, v198
	v_dot4_i32_i8 v205, v196, v53, 0
	s_waitcnt vmcnt(9)
	v_and_b32_e32 v42, 0xf0f0f0f, v87
	v_lshrrev_b32_e32 v200, 4, v87
	v_and_b32_e32 v87, 0xf0f0f0f, v45
	v_and_b32_e32 v45, 0xf0f0f0f, v199
	v_dot4_i32_i8 v199, v86, v54, 0
	v_cvt_f32_i32_e32 v205, v205
	v_and_b32_e32 v48, 0xf0f0f0f, v46
	v_cvt_f32_i32_e32 v199, v199
	v_dot4_i32_i8 v206, v87, v55, 0
	v_fma_f32 v39, v2, v39, -v3
	v_and_b32_e32 v43, 0xf0f0f0f, v200
	v_dot4_i32_i8 v200, v48, v56, 0
	v_cvt_f32_i32_e32 v206, v206
	s_waitcnt vmcnt(7)
	v_fma_mix_f32 v39, v39, v188, 0 op_sel_hi:[0,1,0]
	v_fma_f32 v204, v2, v204, -v3
	v_and_b32_e32 v46, 0xf0f0f0f, v47
	v_lshrrev_b32_e32 v47, 4, v47
	v_dot4_i32_i8 v207, v49, v57, 0
	v_cvt_f32_i32_e32 v200, v200
	v_fma_f32 v198, v4, v198, -v5
	v_fma_mix_f32 v39, v204, v188, v39 op_sel_hi:[0,1,0]
	v_and_b32_e32 v47, 0xf0f0f0f, v47
	v_dot4_i32_i8 v201, v46, v58, 0
	v_cvt_f32_i32_e32 v207, v207
	v_fma_f32 v205, v4, v205, -v5
	s_waitcnt vmcnt(6)
	v_fma_mix_f32 v39, v198, v189, v39 op_sel_hi:[0,1,0]
	v_dot4_i32_i8 v208, v47, v59, 0
	v_cvt_f32_i32_e32 v201, v201
	v_fma_f32 v199, v6, v199, -v7
	v_fma_mix_f32 v39, v205, v189, v39 op_sel_hi:[0,1,0]
	v_dot4_i32_i8 v202, v44, v60, 0
	v_cvt_f32_i32_e32 v208, v208
	v_fma_f32 v206, v6, v206, -v7
	s_waitcnt vmcnt(5)
	v_fma_mix_f32 v39, v199, v190, v39 op_sel_hi:[0,1,0]
	v_dot4_i32_i8 v209, v45, v61, 0
	v_cvt_f32_i32_e32 v202, v202
	v_fma_f32 v200, v8, v200, -v9
	v_fma_mix_f32 v39, v206, v190, v39 op_sel_hi:[0,1,0]
	v_dot4_i32_i8 v203, v42, v62, 0
	v_cvt_f32_i32_e32 v209, v209
	v_fma_f32 v207, v8, v207, -v9
	s_waitcnt vmcnt(4)
	v_fma_mix_f32 v39, v200, v191, v39 op_sel_hi:[0,1,0]
	v_and_b32_e32 v40, 0xf0f0f0f, v41
	v_lshrrev_b32_e32 v41, 4, v41
	v_dot4_i32_i8 v210, v43, v63, 0
	v_cvt_f32_i32_e32 v203, v203
	v_fma_f32 v201, v10, v201, -v11
	v_fma_mix_f32 v39, v207, v191, v39 op_sel_hi:[0,1,0]
	v_and_b32_e32 v41, 0xf0f0f0f, v41
	v_cvt_f32_i32_e32 v210, v210
	v_fma_f32 v208, v10, v208, -v11
	s_waitcnt vmcnt(3)
	v_fma_mix_f32 v39, v201, v192, v39 op_sel_hi:[0,1,0]
	v_dot4_i32_i8 v199, v40, v64, 0
	v_fma_f32 v202, v12, v202, -v13
	v_fma_mix_f32 v39, v208, v192, v39 op_sel_hi:[0,1,0]
	v_dot4_i32_i8 v200, v41, v65, 0
	v_cvt_f32_i32_e32 v199, v199
	v_fma_f32 v209, v12, v209, -v13
	s_waitcnt vmcnt(2)
	v_fma_mix_f32 v39, v202, v193, v39 op_sel_hi:[0,1,0]
	v_cvt_f32_i32_e32 v200, v200
	v_fma_mix_f32 v39, v209, v193, v39 op_sel_hi:[0,1,0]
	v_fma_f32 v198, v14, v203, -v15
	v_fma_f32 v210, v14, v210, -v15
	s_waitcnt vmcnt(1)
	v_fma_mix_f32 v39, v198, v194, v39 op_sel_hi:[0,1,0]
	v_fma_mix_f32 v39, v210, v194, v39 op_sel_hi:[0,1,0]
	v_fma_f32 v199, v16, v199, -v17
	v_fma_f32 v198, v16, v200, -v17
	s_waitcnt vmcnt(0)
	v_fma_mix_f32 v39, v199, v187, v39 op_sel_hi:[0,1,0]
	v_fma_mix_f32 v39, v198, v187, v39 op_sel_hi:[0,1,0]
	ds_bpermute_b32 v198, v98, v39
	s_waitcnt lgkmcnt(0)
	v_add_f32_e32 v39, v39, v198
	ds_bpermute_b32 v198, v99, v39
	s_waitcnt lgkmcnt(0)
	v_add_f32_e32 v39, v39, v198
	v_cmp_nlt_f32_e64 s[40:41], |v39|, s52
                                        ; implicit-def: $vgpr198
	s_and_saveexec_b64 s[58:59], s[40:41]
	s_xor_b64 s[40:41], exec, s[58:59]
	s_cbranch_execz .LBB31_35
; %bb.34:                               ;   in Loop: Header=BB31_21 Depth=1
	v_add_f32_e64 v198, |v39|, |v39|
	v_mul_f32_e32 v199, 0x3fb8aa3b, v198
	v_rndne_f32_e32 v200, v199
	v_sub_f32_e32 v201, v199, v200
	v_fma_f32 v199, v198, s53, -v199
	v_fmac_f32_e32 v199, 0x32a5705f, v198
	v_add_f32_e32 v199, v201, v199
	v_cvt_i32_f32_e32 v200, v200
	v_exp_f32_e32 v199, v199
	v_cmp_ngt_f32_e32 vcc, s54, v198
	v_ldexp_f32 v199, v199, v200
	v_cndmask_b32_e32 v199, 0, v199, vcc
	v_cmp_nlt_f32_e32 vcc, s55, v198
	v_cndmask_b32_e32 v198, v183, v199, vcc
	v_add_f32_e32 v198, 1.0, v198
	v_rcp_f32_e32 v198, v198
	v_fma_f32 v198, v198, -2.0, 1.0
.LBB31_35:                              ;   in Loop: Header=BB31_21 Depth=1
	s_andn2_saveexec_b64 s[40:41], s[40:41]
; %bb.36:                               ;   in Loop: Header=BB31_21 Depth=1
	v_mul_f32_e32 v198, v39, v39
	v_mov_b32_e32 v199, 0x3ca908c9
	v_fmac_f32_e32 v199, 0xbbbac73d, v198
	v_fma_f32 v199, v198, v199, v180
	v_fma_f32 v199, v198, v199, v181
	;; [unrolled: 1-line block ×3, first 2 shown]
	v_mul_f32_e64 v199, |v39|, v199
	v_fma_f32 v198, v198, v199, |v39|
; %bb.37:                               ;   in Loop: Header=BB31_21 Depth=1
	s_or_b64 exec, exec, s[40:41]
	v_bfi_b32 v39, s56, v198, v39
	s_and_b64 vcc, exec, s[16:17]
	v_mul_f32_e32 v39, s27, v39
	s_cbranch_vccnz .LBB31_39
; %bb.38:                               ;   in Loop: Header=BB31_21 Depth=1
	global_load_ushort v198, v38, s[34:35] offset:2
	s_waitcnt vmcnt(0)
	v_fma_mix_f32 v39, v92, v198, v39 op_sel_hi:[0,1,0]
.LBB31_39:                              ;   in Loop: Header=BB31_21 Depth=1
	v_dot4_i32_i8 v195, v195, v66, 0
	v_cvt_f32_i32_e32 v195, v195
	v_dot4_i32_i8 v197, v197, v67, 0
	v_cvt_f32_f16_e32 v188, v188
	v_cvt_f32_i32_e32 v197, v197
	v_dot4_i32_i8 v186, v186, v68, 0
	v_cvt_f32_i32_e32 v186, v186
	v_dot4_i32_i8 v196, v196, v69, 0
	v_cvt_f32_f16_e32 v189, v189
	v_cvt_f32_i32_e32 v196, v196
	v_dot4_i32_i8 v86, v86, v70, 0
	v_fma_f32 v195, v18, v195, -v19
	v_cvt_f32_i32_e32 v86, v86
	v_dot4_i32_i8 v87, v87, v71, 0
	v_cvt_f32_f16_e32 v190, v190
	v_fma_f32 v195, v195, v188, 0
	v_fma_f32 v197, v18, v197, -v19
	v_cvt_f32_i32_e32 v87, v87
	v_dot4_i32_i8 v48, v48, v72, 0
	v_fmac_f32_e32 v195, v197, v188
	v_fma_f32 v186, v20, v186, -v21
	v_cvt_f32_i32_e32 v48, v48
	v_dot4_i32_i8 v49, v49, v73, 0
	v_cvt_f32_f16_e32 v191, v191
	v_fmac_f32_e32 v195, v186, v189
	v_fma_f32 v186, v20, v196, -v21
	v_cvt_f32_i32_e32 v49, v49
	v_dot4_i32_i8 v46, v46, v74, 0
	v_fmac_f32_e32 v195, v186, v189
	v_fma_f32 v86, v22, v86, -v23
	v_cvt_f32_i32_e32 v46, v46
	v_dot4_i32_i8 v47, v47, v75, 0
	v_cvt_f32_f16_e32 v192, v192
	v_fmac_f32_e32 v195, v86, v190
	;; [unrolled: 9-line block ×5, first 2 shown]
	v_fma_f32 v44, v28, v45, -v29
	v_cvt_f32_i32_e32 v41, v41
	v_fmac_f32_e32 v195, v44, v193
	v_fma_f32 v42, v30, v42, -v31
	v_fmac_f32_e32 v195, v42, v194
	v_fma_f32 v42, v30, v43, -v31
	;; [unrolled: 2-line block ×4, first 2 shown]
	v_fmac_f32_e32 v195, v40, v187
	ds_bpermute_b32 v40, v98, v195
	s_waitcnt lgkmcnt(0)
	v_add_f32_e32 v40, v195, v40
	ds_bpermute_b32 v41, v99, v40
	s_waitcnt lgkmcnt(0)
	v_add_f32_e32 v40, v40, v41
	v_cmp_nlt_f32_e64 s[40:41], |v40|, s52
                                        ; implicit-def: $vgpr41
	s_and_saveexec_b64 s[58:59], s[40:41]
	s_xor_b64 s[40:41], exec, s[58:59]
	s_cbranch_execz .LBB31_41
; %bb.40:                               ;   in Loop: Header=BB31_21 Depth=1
	v_add_f32_e64 v41, |v40|, |v40|
	v_mul_f32_e32 v42, 0x3fb8aa3b, v41
	v_rndne_f32_e32 v43, v42
	v_sub_f32_e32 v44, v42, v43
	v_fma_f32 v42, v41, s53, -v42
	v_fmac_f32_e32 v42, 0x32a5705f, v41
	v_add_f32_e32 v42, v44, v42
	v_cvt_i32_f32_e32 v43, v43
	v_exp_f32_e32 v42, v42
	v_cmp_ngt_f32_e32 vcc, s54, v41
	v_ldexp_f32 v42, v42, v43
	v_cndmask_b32_e32 v42, 0, v42, vcc
	v_cmp_nlt_f32_e32 vcc, s55, v41
	v_cndmask_b32_e32 v41, v183, v42, vcc
	v_add_f32_e32 v41, 1.0, v41
	v_rcp_f32_e32 v41, v41
	v_fma_f32 v41, v41, -2.0, 1.0
.LBB31_41:                              ;   in Loop: Header=BB31_21 Depth=1
	s_andn2_saveexec_b64 s[40:41], s[40:41]
; %bb.42:                               ;   in Loop: Header=BB31_21 Depth=1
	v_mul_f32_e32 v41, v40, v40
	v_mov_b32_e32 v42, 0x3ca908c9
	v_fmac_f32_e32 v42, 0xbbbac73d, v41
	v_fma_f32 v42, v41, v42, v180
	v_fma_f32 v42, v41, v42, v181
	;; [unrolled: 1-line block ×3, first 2 shown]
	v_mul_f32_e64 v42, |v40|, v42
	v_fma_f32 v41, v41, v42, |v40|
; %bb.43:                               ;   in Loop: Header=BB31_21 Depth=1
	s_or_b64 exec, exec, s[40:41]
	v_bfi_b32 v40, s56, v41, v40
	s_and_b64 vcc, exec, s[18:19]
	v_mul_f32_e32 v40, s27, v40
	s_cbranch_vccnz .LBB31_45
; %bb.44:                               ;   in Loop: Header=BB31_21 Depth=1
	v_mov_b32_e32 v42, s35
	v_add_co_u32_e32 v41, vcc, s34, v84
	v_addc_co_u32_e32 v42, vcc, v42, v85, vcc
	global_load_ushort v41, v[41:42], off offset:2
	s_waitcnt vmcnt(0)
	v_fma_mix_f32 v40, v92, v41, v40 op_sel_hi:[0,1,0]
.LBB31_45:                              ;   in Loop: Header=BB31_21 Depth=1
	v_mov_b32_e32 v42, s47
	v_add_co_u32_e32 v41, vcc, s46, v104
	v_addc_co_u32_e32 v42, vcc, v42, v105, vcc
	v_add_co_u32_e32 v43, vcc, v41, v97
	v_addc_co_u32_e32 v44, vcc, 0, v42, vcc
	global_load_dword v45, v[43:44], off offset:2
	global_load_dword v46, v[43:44], off offset:20
	;; [unrolled: 1-line block ×7, first 2 shown]
	s_nop 0
	global_load_dword v43, v[43:44], off offset:128
	s_nop 0
	global_load_ushort v190, v[41:42], off
	global_load_ushort v191, v[41:42], off offset:18
	global_load_ushort v192, v[41:42], off offset:36
	;; [unrolled: 1-line block ×7, first 2 shown]
	s_waitcnt vmcnt(15)
	v_and_b32_e32 v197, 0xf0f0f0f, v45
	v_lshrrev_b32_e32 v41, 4, v45
	v_and_b32_e32 v199, 0xf0f0f0f, v41
	v_dot4_i32_i8 v41, v197, v50, 0
	s_waitcnt vmcnt(14)
	v_and_b32_e32 v188, 0xf0f0f0f, v46
	v_lshrrev_b32_e32 v45, 4, v46
	s_waitcnt vmcnt(12)
	v_lshrrev_b32_e32 v200, 4, v48
	v_cvt_f32_i32_e32 v41, v41
	v_dot4_i32_i8 v206, v199, v51, 0
	s_waitcnt vmcnt(10)
	v_and_b32_e32 v46, 0xf0f0f0f, v87
	v_lshrrev_b32_e32 v201, 4, v87
	v_and_b32_e32 v198, 0xf0f0f0f, v45
	v_and_b32_e32 v87, 0xf0f0f0f, v200
	v_dot4_i32_i8 v200, v188, v52, 0
	v_cvt_f32_i32_e32 v206, v206
	v_and_b32_e32 v186, 0xf0f0f0f, v47
	v_lshrrev_b32_e32 v47, 4, v47
	v_cvt_f32_i32_e32 v200, v200
	v_dot4_i32_i8 v207, v198, v53, 0
	s_waitcnt vmcnt(9)
	v_and_b32_e32 v44, 0xf0f0f0f, v187
	v_lshrrev_b32_e32 v202, 4, v187
	v_and_b32_e32 v187, 0xf0f0f0f, v47
	v_and_b32_e32 v47, 0xf0f0f0f, v201
	v_dot4_i32_i8 v201, v186, v54, 0
	v_cvt_f32_i32_e32 v207, v207
	v_and_b32_e32 v86, 0xf0f0f0f, v48
	v_cvt_f32_i32_e32 v201, v201
	v_dot4_i32_i8 v208, v187, v55, 0
	v_fma_f32 v41, v2, v41, -v3
	v_and_b32_e32 v45, 0xf0f0f0f, v202
	v_dot4_i32_i8 v202, v86, v56, 0
	v_cvt_f32_i32_e32 v208, v208
	s_waitcnt vmcnt(7)
	v_fma_mix_f32 v41, v41, v190, 0 op_sel_hi:[0,1,0]
	v_fma_f32 v206, v2, v206, -v3
	v_and_b32_e32 v48, 0xf0f0f0f, v49
	v_lshrrev_b32_e32 v49, 4, v49
	v_dot4_i32_i8 v209, v87, v57, 0
	v_cvt_f32_i32_e32 v202, v202
	v_fma_f32 v200, v4, v200, -v5
	v_fma_mix_f32 v41, v206, v190, v41 op_sel_hi:[0,1,0]
	v_and_b32_e32 v49, 0xf0f0f0f, v49
	v_dot4_i32_i8 v203, v48, v58, 0
	v_cvt_f32_i32_e32 v209, v209
	v_fma_f32 v207, v4, v207, -v5
	s_waitcnt vmcnt(6)
	v_fma_mix_f32 v41, v200, v191, v41 op_sel_hi:[0,1,0]
	v_dot4_i32_i8 v210, v49, v59, 0
	v_cvt_f32_i32_e32 v203, v203
	v_fma_f32 v201, v6, v201, -v7
	v_fma_mix_f32 v41, v207, v191, v41 op_sel_hi:[0,1,0]
	v_dot4_i32_i8 v204, v46, v60, 0
	v_cvt_f32_i32_e32 v210, v210
	v_fma_f32 v208, v6, v208, -v7
	s_waitcnt vmcnt(5)
	v_fma_mix_f32 v41, v201, v192, v41 op_sel_hi:[0,1,0]
	v_dot4_i32_i8 v211, v47, v61, 0
	v_cvt_f32_i32_e32 v204, v204
	v_fma_f32 v202, v8, v202, -v9
	v_fma_mix_f32 v41, v208, v192, v41 op_sel_hi:[0,1,0]
	v_dot4_i32_i8 v205, v44, v62, 0
	v_cvt_f32_i32_e32 v211, v211
	v_fma_f32 v209, v8, v209, -v9
	s_waitcnt vmcnt(4)
	v_fma_mix_f32 v41, v202, v193, v41 op_sel_hi:[0,1,0]
	v_and_b32_e32 v42, 0xf0f0f0f, v43
	v_lshrrev_b32_e32 v43, 4, v43
	v_dot4_i32_i8 v212, v45, v63, 0
	v_cvt_f32_i32_e32 v205, v205
	v_fma_f32 v203, v10, v203, -v11
	v_fma_mix_f32 v41, v209, v193, v41 op_sel_hi:[0,1,0]
	v_and_b32_e32 v43, 0xf0f0f0f, v43
	v_cvt_f32_i32_e32 v212, v212
	v_fma_f32 v210, v10, v210, -v11
	s_waitcnt vmcnt(3)
	v_fma_mix_f32 v41, v203, v194, v41 op_sel_hi:[0,1,0]
	v_dot4_i32_i8 v201, v42, v64, 0
	v_fma_f32 v204, v12, v204, -v13
	v_fma_mix_f32 v41, v210, v194, v41 op_sel_hi:[0,1,0]
	v_dot4_i32_i8 v202, v43, v65, 0
	v_cvt_f32_i32_e32 v201, v201
	v_fma_f32 v211, v12, v211, -v13
	s_waitcnt vmcnt(2)
	v_fma_mix_f32 v41, v204, v195, v41 op_sel_hi:[0,1,0]
	v_cvt_f32_i32_e32 v202, v202
	v_fma_mix_f32 v41, v211, v195, v41 op_sel_hi:[0,1,0]
	v_fma_f32 v200, v14, v205, -v15
	v_fma_f32 v212, v14, v212, -v15
	s_waitcnt vmcnt(1)
	v_fma_mix_f32 v41, v200, v196, v41 op_sel_hi:[0,1,0]
	v_fma_mix_f32 v41, v212, v196, v41 op_sel_hi:[0,1,0]
	v_fma_f32 v201, v16, v201, -v17
	v_fma_f32 v200, v16, v202, -v17
	s_waitcnt vmcnt(0)
	v_fma_mix_f32 v41, v201, v189, v41 op_sel_hi:[0,1,0]
	v_fma_mix_f32 v41, v200, v189, v41 op_sel_hi:[0,1,0]
	ds_bpermute_b32 v200, v98, v41
	s_waitcnt lgkmcnt(0)
	v_add_f32_e32 v41, v41, v200
	ds_bpermute_b32 v200, v99, v41
	s_waitcnt lgkmcnt(0)
	v_add_f32_e32 v41, v41, v200
	v_cmp_nlt_f32_e64 s[40:41], |v41|, s52
                                        ; implicit-def: $vgpr200
	s_and_saveexec_b64 s[58:59], s[40:41]
	s_xor_b64 s[40:41], exec, s[58:59]
	s_cbranch_execz .LBB31_47
; %bb.46:                               ;   in Loop: Header=BB31_21 Depth=1
	v_add_f32_e64 v200, |v41|, |v41|
	v_mul_f32_e32 v201, 0x3fb8aa3b, v200
	v_rndne_f32_e32 v202, v201
	v_sub_f32_e32 v203, v201, v202
	v_fma_f32 v201, v200, s53, -v201
	v_fmac_f32_e32 v201, 0x32a5705f, v200
	v_add_f32_e32 v201, v203, v201
	v_cvt_i32_f32_e32 v202, v202
	v_exp_f32_e32 v201, v201
	v_cmp_ngt_f32_e32 vcc, s54, v200
	v_ldexp_f32 v201, v201, v202
	v_cndmask_b32_e32 v201, 0, v201, vcc
	v_cmp_nlt_f32_e32 vcc, s55, v200
	v_cndmask_b32_e32 v200, v183, v201, vcc
	v_add_f32_e32 v200, 1.0, v200
	v_rcp_f32_e32 v200, v200
	v_fma_f32 v200, v200, -2.0, 1.0
.LBB31_47:                              ;   in Loop: Header=BB31_21 Depth=1
	s_andn2_saveexec_b64 s[40:41], s[40:41]
; %bb.48:                               ;   in Loop: Header=BB31_21 Depth=1
	v_mul_f32_e32 v200, v41, v41
	v_mov_b32_e32 v201, 0x3ca908c9
	v_fmac_f32_e32 v201, 0xbbbac73d, v200
	v_fma_f32 v201, v200, v201, v180
	v_fma_f32 v201, v200, v201, v181
	;; [unrolled: 1-line block ×3, first 2 shown]
	v_mul_f32_e64 v201, |v41|, v201
	v_fma_f32 v200, v200, v201, |v41|
; %bb.49:                               ;   in Loop: Header=BB31_21 Depth=1
	s_or_b64 exec, exec, s[40:41]
	v_bfi_b32 v41, s56, v200, v41
	s_and_b64 vcc, exec, s[16:17]
	v_mul_f32_e32 v41, s27, v41
	s_cbranch_vccnz .LBB31_51
; %bb.50:                               ;   in Loop: Header=BB31_21 Depth=1
	global_load_ushort v200, v38, s[34:35] offset:4
	s_waitcnt vmcnt(0)
	v_fma_mix_f32 v41, v92, v200, v41 op_sel_hi:[0,1,0]
.LBB31_51:                              ;   in Loop: Header=BB31_21 Depth=1
	v_dot4_i32_i8 v197, v197, v66, 0
	v_cvt_f32_i32_e32 v197, v197
	v_dot4_i32_i8 v199, v199, v67, 0
	v_cvt_f32_f16_e32 v190, v190
	v_cvt_f32_i32_e32 v199, v199
	v_dot4_i32_i8 v188, v188, v68, 0
	v_cvt_f32_i32_e32 v188, v188
	v_dot4_i32_i8 v198, v198, v69, 0
	v_cvt_f32_f16_e32 v191, v191
	v_cvt_f32_i32_e32 v198, v198
	v_dot4_i32_i8 v186, v186, v70, 0
	v_fma_f32 v197, v18, v197, -v19
	v_cvt_f32_i32_e32 v186, v186
	v_dot4_i32_i8 v187, v187, v71, 0
	v_cvt_f32_f16_e32 v192, v192
	v_fma_f32 v197, v197, v190, 0
	v_fma_f32 v199, v18, v199, -v19
	v_cvt_f32_i32_e32 v187, v187
	v_dot4_i32_i8 v86, v86, v72, 0
	v_fmac_f32_e32 v197, v199, v190
	v_fma_f32 v188, v20, v188, -v21
	v_cvt_f32_i32_e32 v86, v86
	v_dot4_i32_i8 v87, v87, v73, 0
	v_cvt_f32_f16_e32 v193, v193
	v_fmac_f32_e32 v197, v188, v191
	v_fma_f32 v188, v20, v198, -v21
	v_cvt_f32_i32_e32 v87, v87
	v_dot4_i32_i8 v48, v48, v74, 0
	v_fmac_f32_e32 v197, v188, v191
	v_fma_f32 v186, v22, v186, -v23
	v_cvt_f32_i32_e32 v48, v48
	v_dot4_i32_i8 v49, v49, v75, 0
	v_cvt_f32_f16_e32 v194, v194
	v_fmac_f32_e32 v197, v186, v192
	;; [unrolled: 9-line block ×5, first 2 shown]
	v_fma_f32 v46, v28, v47, -v29
	v_cvt_f32_i32_e32 v43, v43
	v_fmac_f32_e32 v197, v46, v195
	v_fma_f32 v44, v30, v44, -v31
	v_fmac_f32_e32 v197, v44, v196
	v_fma_f32 v44, v30, v45, -v31
	;; [unrolled: 2-line block ×4, first 2 shown]
	v_fmac_f32_e32 v197, v42, v189
	ds_bpermute_b32 v42, v98, v197
	s_waitcnt lgkmcnt(0)
	v_add_f32_e32 v42, v197, v42
	ds_bpermute_b32 v43, v99, v42
	s_waitcnt lgkmcnt(0)
	v_add_f32_e32 v42, v42, v43
	v_cmp_nlt_f32_e64 s[40:41], |v42|, s52
                                        ; implicit-def: $vgpr43
	s_and_saveexec_b64 s[58:59], s[40:41]
	s_xor_b64 s[40:41], exec, s[58:59]
	s_cbranch_execz .LBB31_53
; %bb.52:                               ;   in Loop: Header=BB31_21 Depth=1
	v_add_f32_e64 v43, |v42|, |v42|
	v_mul_f32_e32 v44, 0x3fb8aa3b, v43
	v_rndne_f32_e32 v45, v44
	v_sub_f32_e32 v46, v44, v45
	v_fma_f32 v44, v43, s53, -v44
	v_fmac_f32_e32 v44, 0x32a5705f, v43
	v_add_f32_e32 v44, v46, v44
	v_cvt_i32_f32_e32 v45, v45
	v_exp_f32_e32 v44, v44
	v_cmp_ngt_f32_e32 vcc, s54, v43
	v_ldexp_f32 v44, v44, v45
	v_cndmask_b32_e32 v44, 0, v44, vcc
	v_cmp_nlt_f32_e32 vcc, s55, v43
	v_cndmask_b32_e32 v43, v183, v44, vcc
	v_add_f32_e32 v43, 1.0, v43
	v_rcp_f32_e32 v43, v43
	v_fma_f32 v43, v43, -2.0, 1.0
.LBB31_53:                              ;   in Loop: Header=BB31_21 Depth=1
	s_andn2_saveexec_b64 s[40:41], s[40:41]
; %bb.54:                               ;   in Loop: Header=BB31_21 Depth=1
	v_mul_f32_e32 v43, v42, v42
	v_mov_b32_e32 v44, 0x3ca908c9
	v_fmac_f32_e32 v44, 0xbbbac73d, v43
	v_fma_f32 v44, v43, v44, v180
	v_fma_f32 v44, v43, v44, v181
	v_fma_f32 v44, v43, v44, v182
	v_mul_f32_e64 v44, |v42|, v44
	v_fma_f32 v43, v43, v44, |v42|
; %bb.55:                               ;   in Loop: Header=BB31_21 Depth=1
	s_or_b64 exec, exec, s[40:41]
	v_bfi_b32 v42, s56, v43, v42
	s_and_b64 vcc, exec, s[18:19]
	v_mul_f32_e32 v42, s27, v42
	s_cbranch_vccnz .LBB31_57
; %bb.56:                               ;   in Loop: Header=BB31_21 Depth=1
	v_mov_b32_e32 v44, s35
	v_add_co_u32_e32 v43, vcc, s34, v84
	v_addc_co_u32_e32 v44, vcc, v44, v85, vcc
	global_load_ushort v43, v[43:44], off offset:4
	s_waitcnt vmcnt(0)
	v_fma_mix_f32 v42, v92, v43, v42 op_sel_hi:[0,1,0]
.LBB31_57:                              ;   in Loop: Header=BB31_21 Depth=1
	v_mov_b32_e32 v44, s47
	v_add_co_u32_e32 v43, vcc, s46, v106
	v_addc_co_u32_e32 v44, vcc, v44, v107, vcc
	v_add_co_u32_e32 v45, vcc, v43, v97
	v_addc_co_u32_e32 v46, vcc, 0, v44, vcc
	global_load_dword v47, v[45:46], off offset:2
	global_load_dword v48, v[45:46], off offset:20
	;; [unrolled: 1-line block ×7, first 2 shown]
	s_nop 0
	global_load_dword v45, v[45:46], off offset:128
	s_nop 0
	global_load_ushort v192, v[43:44], off
	global_load_ushort v193, v[43:44], off offset:18
	global_load_ushort v194, v[43:44], off offset:36
	;; [unrolled: 1-line block ×7, first 2 shown]
	s_waitcnt vmcnt(15)
	v_and_b32_e32 v199, 0xf0f0f0f, v47
	v_lshrrev_b32_e32 v43, 4, v47
	v_and_b32_e32 v201, 0xf0f0f0f, v43
	v_dot4_i32_i8 v43, v199, v50, 0
	s_waitcnt vmcnt(14)
	v_and_b32_e32 v190, 0xf0f0f0f, v48
	v_lshrrev_b32_e32 v47, 4, v48
	s_waitcnt vmcnt(12)
	v_lshrrev_b32_e32 v202, 4, v86
	v_cvt_f32_i32_e32 v43, v43
	v_dot4_i32_i8 v208, v201, v51, 0
	s_waitcnt vmcnt(10)
	v_and_b32_e32 v48, 0xf0f0f0f, v187
	v_lshrrev_b32_e32 v203, 4, v187
	v_and_b32_e32 v200, 0xf0f0f0f, v47
	v_and_b32_e32 v187, 0xf0f0f0f, v202
	v_dot4_i32_i8 v202, v190, v52, 0
	v_cvt_f32_i32_e32 v208, v208
	v_and_b32_e32 v188, 0xf0f0f0f, v49
	v_lshrrev_b32_e32 v49, 4, v49
	v_cvt_f32_i32_e32 v202, v202
	v_dot4_i32_i8 v209, v200, v53, 0
	s_waitcnt vmcnt(9)
	v_and_b32_e32 v46, 0xf0f0f0f, v189
	v_lshrrev_b32_e32 v204, 4, v189
	v_and_b32_e32 v189, 0xf0f0f0f, v49
	v_and_b32_e32 v49, 0xf0f0f0f, v203
	v_dot4_i32_i8 v203, v188, v54, 0
	v_cvt_f32_i32_e32 v209, v209
	v_and_b32_e32 v186, 0xf0f0f0f, v86
	v_cvt_f32_i32_e32 v203, v203
	v_dot4_i32_i8 v210, v189, v55, 0
	v_fma_f32 v43, v2, v43, -v3
	v_and_b32_e32 v47, 0xf0f0f0f, v204
	v_dot4_i32_i8 v204, v186, v56, 0
	v_cvt_f32_i32_e32 v210, v210
	s_waitcnt vmcnt(7)
	v_fma_mix_f32 v43, v43, v192, 0 op_sel_hi:[0,1,0]
	v_fma_f32 v208, v2, v208, -v3
	v_and_b32_e32 v86, 0xf0f0f0f, v87
	v_lshrrev_b32_e32 v87, 4, v87
	v_dot4_i32_i8 v211, v187, v57, 0
	v_cvt_f32_i32_e32 v204, v204
	v_fma_f32 v202, v4, v202, -v5
	v_fma_mix_f32 v43, v208, v192, v43 op_sel_hi:[0,1,0]
	v_and_b32_e32 v87, 0xf0f0f0f, v87
	v_dot4_i32_i8 v205, v86, v58, 0
	v_cvt_f32_i32_e32 v211, v211
	v_fma_f32 v209, v4, v209, -v5
	s_waitcnt vmcnt(6)
	v_fma_mix_f32 v43, v202, v193, v43 op_sel_hi:[0,1,0]
	v_dot4_i32_i8 v212, v87, v59, 0
	v_cvt_f32_i32_e32 v205, v205
	v_fma_f32 v203, v6, v203, -v7
	v_fma_mix_f32 v43, v209, v193, v43 op_sel_hi:[0,1,0]
	v_dot4_i32_i8 v206, v48, v60, 0
	v_cvt_f32_i32_e32 v212, v212
	v_fma_f32 v210, v6, v210, -v7
	s_waitcnt vmcnt(5)
	v_fma_mix_f32 v43, v203, v194, v43 op_sel_hi:[0,1,0]
	v_dot4_i32_i8 v213, v49, v61, 0
	v_cvt_f32_i32_e32 v206, v206
	v_fma_f32 v204, v8, v204, -v9
	v_fma_mix_f32 v43, v210, v194, v43 op_sel_hi:[0,1,0]
	v_dot4_i32_i8 v207, v46, v62, 0
	v_cvt_f32_i32_e32 v213, v213
	v_fma_f32 v211, v8, v211, -v9
	s_waitcnt vmcnt(4)
	v_fma_mix_f32 v43, v204, v195, v43 op_sel_hi:[0,1,0]
	v_and_b32_e32 v44, 0xf0f0f0f, v45
	v_lshrrev_b32_e32 v45, 4, v45
	v_dot4_i32_i8 v214, v47, v63, 0
	v_cvt_f32_i32_e32 v207, v207
	v_fma_f32 v205, v10, v205, -v11
	v_fma_mix_f32 v43, v211, v195, v43 op_sel_hi:[0,1,0]
	v_and_b32_e32 v45, 0xf0f0f0f, v45
	v_cvt_f32_i32_e32 v214, v214
	v_fma_f32 v212, v10, v212, -v11
	s_waitcnt vmcnt(3)
	v_fma_mix_f32 v43, v205, v196, v43 op_sel_hi:[0,1,0]
	v_dot4_i32_i8 v203, v44, v64, 0
	v_fma_f32 v206, v12, v206, -v13
	v_fma_mix_f32 v43, v212, v196, v43 op_sel_hi:[0,1,0]
	v_dot4_i32_i8 v204, v45, v65, 0
	v_cvt_f32_i32_e32 v203, v203
	v_fma_f32 v213, v12, v213, -v13
	s_waitcnt vmcnt(2)
	v_fma_mix_f32 v43, v206, v197, v43 op_sel_hi:[0,1,0]
	v_cvt_f32_i32_e32 v204, v204
	v_fma_mix_f32 v43, v213, v197, v43 op_sel_hi:[0,1,0]
	v_fma_f32 v202, v14, v207, -v15
	v_fma_f32 v214, v14, v214, -v15
	s_waitcnt vmcnt(1)
	v_fma_mix_f32 v43, v202, v198, v43 op_sel_hi:[0,1,0]
	v_fma_mix_f32 v43, v214, v198, v43 op_sel_hi:[0,1,0]
	v_fma_f32 v203, v16, v203, -v17
	v_fma_f32 v202, v16, v204, -v17
	s_waitcnt vmcnt(0)
	v_fma_mix_f32 v43, v203, v191, v43 op_sel_hi:[0,1,0]
	v_fma_mix_f32 v43, v202, v191, v43 op_sel_hi:[0,1,0]
	ds_bpermute_b32 v202, v98, v43
	s_waitcnt lgkmcnt(0)
	v_add_f32_e32 v43, v43, v202
	ds_bpermute_b32 v202, v99, v43
	s_waitcnt lgkmcnt(0)
	v_add_f32_e32 v43, v43, v202
	v_cmp_nlt_f32_e64 s[40:41], |v43|, s52
                                        ; implicit-def: $vgpr202
	s_and_saveexec_b64 s[58:59], s[40:41]
	s_xor_b64 s[40:41], exec, s[58:59]
	s_cbranch_execz .LBB31_59
; %bb.58:                               ;   in Loop: Header=BB31_21 Depth=1
	v_add_f32_e64 v202, |v43|, |v43|
	v_mul_f32_e32 v203, 0x3fb8aa3b, v202
	v_rndne_f32_e32 v204, v203
	v_sub_f32_e32 v205, v203, v204
	v_fma_f32 v203, v202, s53, -v203
	v_fmac_f32_e32 v203, 0x32a5705f, v202
	v_add_f32_e32 v203, v205, v203
	v_cvt_i32_f32_e32 v204, v204
	v_exp_f32_e32 v203, v203
	v_cmp_ngt_f32_e32 vcc, s54, v202
	v_ldexp_f32 v203, v203, v204
	v_cndmask_b32_e32 v203, 0, v203, vcc
	v_cmp_nlt_f32_e32 vcc, s55, v202
	v_cndmask_b32_e32 v202, v183, v203, vcc
	v_add_f32_e32 v202, 1.0, v202
	v_rcp_f32_e32 v202, v202
	v_fma_f32 v202, v202, -2.0, 1.0
.LBB31_59:                              ;   in Loop: Header=BB31_21 Depth=1
	s_andn2_saveexec_b64 s[40:41], s[40:41]
; %bb.60:                               ;   in Loop: Header=BB31_21 Depth=1
	v_mul_f32_e32 v202, v43, v43
	v_mov_b32_e32 v203, 0x3ca908c9
	v_fmac_f32_e32 v203, 0xbbbac73d, v202
	v_fma_f32 v203, v202, v203, v180
	v_fma_f32 v203, v202, v203, v181
	;; [unrolled: 1-line block ×3, first 2 shown]
	v_mul_f32_e64 v203, |v43|, v203
	v_fma_f32 v202, v202, v203, |v43|
; %bb.61:                               ;   in Loop: Header=BB31_21 Depth=1
	s_or_b64 exec, exec, s[40:41]
	v_bfi_b32 v43, s56, v202, v43
	s_and_b64 vcc, exec, s[16:17]
	v_mul_f32_e32 v43, s27, v43
	s_cbranch_vccnz .LBB31_63
; %bb.62:                               ;   in Loop: Header=BB31_21 Depth=1
	global_load_ushort v38, v38, s[34:35] offset:6
	s_waitcnt vmcnt(0)
	v_fma_mix_f32 v43, v92, v38, v43 op_sel_hi:[0,1,0]
.LBB31_63:                              ;   in Loop: Header=BB31_21 Depth=1
	v_cvt_f32_f16_e32 v38, v192
	v_cvt_f32_f16_e32 v192, v193
	;; [unrolled: 1-line block ×7, first 2 shown]
	v_dot4_i32_i8 v198, v199, v66, 0
	v_cvt_f32_i32_e32 v198, v198
	v_dot4_i32_i8 v199, v201, v67, 0
	v_cvt_f32_i32_e32 v199, v199
	;; [unrolled: 2-line block ×4, first 2 shown]
	v_dot4_i32_i8 v188, v188, v70, 0
	v_fma_f32 v198, v18, v198, -v19
	v_cvt_f32_i32_e32 v188, v188
	v_dot4_i32_i8 v189, v189, v71, 0
	v_fma_f32 v198, v198, v38, 0
	v_fma_f32 v199, v18, v199, -v19
	v_cvt_f32_i32_e32 v189, v189
	v_dot4_i32_i8 v186, v186, v72, 0
	v_fmac_f32_e32 v198, v199, v38
	v_fma_f32 v38, v20, v190, -v21
	v_cvt_f32_i32_e32 v186, v186
	v_dot4_i32_i8 v187, v187, v73, 0
	v_fmac_f32_e32 v198, v38, v192
	;; [unrolled: 4-line block ×9, first 2 shown]
	v_fma_f32 v38, v28, v48, -v29
	v_cvt_f32_i32_e32 v44, v44
	v_dot4_i32_i8 v45, v45, v81, 0
	v_cvt_f32_f16_e32 v191, v191
	v_fmac_f32_e32 v198, v38, v196
	v_fma_f32 v38, v28, v49, -v29
	v_cvt_f32_i32_e32 v45, v45
	v_fmac_f32_e32 v198, v38, v196
	v_fma_f32 v38, v30, v46, -v31
	v_fmac_f32_e32 v198, v38, v197
	v_fma_f32 v38, v30, v47, -v31
	;; [unrolled: 2-line block ×4, first 2 shown]
	v_fmac_f32_e32 v198, v38, v191
	ds_bpermute_b32 v38, v98, v198
	s_waitcnt lgkmcnt(0)
	v_add_f32_e32 v38, v198, v38
	ds_bpermute_b32 v44, v99, v38
	s_waitcnt lgkmcnt(0)
	v_add_f32_e32 v38, v38, v44
	v_cmp_nlt_f32_e64 s[16:17], |v38|, s52
                                        ; implicit-def: $vgpr44
	s_and_saveexec_b64 s[40:41], s[16:17]
	s_xor_b64 s[16:17], exec, s[40:41]
	s_cbranch_execz .LBB31_65
; %bb.64:                               ;   in Loop: Header=BB31_21 Depth=1
	v_add_f32_e64 v44, |v38|, |v38|
	v_mul_f32_e32 v45, 0x3fb8aa3b, v44
	v_rndne_f32_e32 v46, v45
	v_sub_f32_e32 v47, v45, v46
	v_fma_f32 v45, v44, s53, -v45
	v_fmac_f32_e32 v45, 0x32a5705f, v44
	v_add_f32_e32 v45, v47, v45
	v_cvt_i32_f32_e32 v46, v46
	v_exp_f32_e32 v45, v45
	v_cmp_ngt_f32_e32 vcc, s54, v44
	v_ldexp_f32 v45, v45, v46
	v_cndmask_b32_e32 v45, 0, v45, vcc
	v_cmp_nlt_f32_e32 vcc, s55, v44
	v_cndmask_b32_e32 v44, v183, v45, vcc
	v_add_f32_e32 v44, 1.0, v44
	v_rcp_f32_e32 v44, v44
	v_fma_f32 v44, v44, -2.0, 1.0
.LBB31_65:                              ;   in Loop: Header=BB31_21 Depth=1
	s_andn2_saveexec_b64 s[16:17], s[16:17]
; %bb.66:                               ;   in Loop: Header=BB31_21 Depth=1
	v_mul_f32_e32 v44, v38, v38
	v_mov_b32_e32 v45, 0x3ca908c9
	v_fmac_f32_e32 v45, 0xbbbac73d, v44
	v_fma_f32 v45, v44, v45, v180
	v_fma_f32 v45, v44, v45, v181
	;; [unrolled: 1-line block ×3, first 2 shown]
	v_mul_f32_e64 v45, |v38|, v45
	v_fma_f32 v44, v44, v45, |v38|
; %bb.67:                               ;   in Loop: Header=BB31_21 Depth=1
	s_or_b64 exec, exec, s[16:17]
	v_bfi_b32 v38, s56, v44, v38
	s_and_b64 vcc, exec, s[18:19]
	v_mul_f32_e32 v38, s27, v38
	s_cbranch_vccnz .LBB31_69
; %bb.68:                               ;   in Loop: Header=BB31_21 Depth=1
	v_mov_b32_e32 v45, s35
	v_add_co_u32_e32 v44, vcc, s34, v84
	v_addc_co_u32_e32 v45, vcc, v45, v85, vcc
	global_load_ushort v44, v[44:45], off offset:6
	s_waitcnt vmcnt(0)
	v_fma_mix_f32 v38, v92, v44, v38 op_sel_hi:[0,1,0]
.LBB31_69:                              ;   in Loop: Header=BB31_21 Depth=1
	buffer_load_dword v44, off, s[0:3], 0
	buffer_load_dword v45, off, s[0:3], 0 offset:4
	buffer_load_dword v46, off, s[0:3], 0 offset:8
	;; [unrolled: 1-line block ×7, first 2 shown]
	v_cndmask_b32_e64 v47, v184, v36, s[8:9]
	v_add_f32_e32 v36, 0x40051340, v36
	v_add_f32_e32 v49, 0x40051340, v39
	v_add_f32_e32 v86, 0x40051340, v41
	v_add_f32_e32 v87, 0x40051340, v43
	v_max3_f32 v36, v35, v36, v49
	v_cndmask_b32_e64 v48, v185, v37, s[8:9]
	v_max3_f32 v36, v36, v86, v87
	v_add_f32_e32 v184, 0x40051340, v40
	v_cndmask_b32_e64 v40, v48, v40, s[10:11]
	ds_bpermute_b32 v48, v108, v36
	v_add_f32_e32 v37, 0x40051340, v37
	v_add_f32_e32 v185, 0x40051340, v42
	;; [unrolled: 1-line block ×3, first 2 shown]
	v_max3_f32 v37, v34, v37, v184
	s_waitcnt lgkmcnt(0)
	v_max_f32_e32 v48, v48, v48
	v_max3_f32 v37, v37, v185, v186
	v_max_f32_e32 v36, v36, v48
	v_cndmask_b32_e64 v39, v47, v39, s[10:11]
	ds_bpermute_b32 v47, v108, v37
	ds_bpermute_b32 v48, v109, v36
	v_cndmask_b32_e64 v39, v39, v41, s[12:13]
	v_cndmask_b32_e64 v40, v40, v42, s[12:13]
	;; [unrolled: 1-line block ×3, first 2 shown]
	s_waitcnt lgkmcnt(1)
	v_max_f32_e32 v41, v47, v47
	s_waitcnt lgkmcnt(0)
	v_max_f32_e32 v47, v48, v48
	v_max_f32_e32 v37, v37, v41
	;; [unrolled: 1-line block ×3, first 2 shown]
	ds_bpermute_b32 v41, v109, v37
	ds_bpermute_b32 v47, v111, v36
	v_cndmask_b32_e64 v39, v39, v43, s[14:15]
	v_mov_b32_e32 v186, s29
	v_mul_u32_u24_e32 v189, 34, v114
	s_waitcnt lgkmcnt(1)
	v_max_f32_e32 v40, v41, v41
	s_waitcnt lgkmcnt(0)
	v_max_f32_e32 v41, v47, v47
	v_max_f32_e32 v86, v36, v41
	v_sub_f32_e32 v35, v35, v86
	v_sub_f32_e32 v36, v39, v86
	v_mul_f32_e32 v39, 0x3fb8aa3b, v35
	v_mul_f32_e32 v41, 0x3fb8aa3b, v36
	v_fma_f32 v42, v35, s53, -v39
	v_rndne_f32_e32 v43, v39
	v_fma_f32 v47, v36, s53, -v41
	v_rndne_f32_e32 v48, v41
	v_fmac_f32_e32 v42, 0x32a5705f, v35
	v_sub_f32_e32 v39, v39, v43
	v_fmac_f32_e32 v47, 0x32a5705f, v36
	v_sub_f32_e32 v41, v41, v48
	v_add_f32_e32 v39, v39, v42
	v_cvt_i32_f32_e32 v43, v43
	v_add_f32_e32 v41, v41, v47
	v_exp_f32_e32 v39, v39
	v_cvt_i32_f32_e32 v48, v48
	v_exp_f32_e32 v41, v41
	v_max_f32_e32 v37, v37, v40
	ds_bpermute_b32 v40, v111, v37
	v_ldexp_f32 v39, v39, v43
	v_cmp_ngt_f32_e32 vcc, s54, v35
	v_ldexp_f32 v41, v41, v48
	v_cndmask_b32_e32 v39, 0, v39, vcc
	v_cmp_ngt_f32_e32 vcc, s54, v36
	v_cndmask_b32_e32 v41, 0, v41, vcc
	v_cmp_nlt_f32_e32 vcc, s55, v35
	v_cndmask_b32_e32 v35, v183, v39, vcc
	v_cmp_nlt_f32_e32 vcc, s55, v36
	v_cndmask_b32_e32 v184, v183, v41, vcc
	v_cvt_f16_f32_e32 v36, v184
	v_cvt_f16_f32_e32 v39, v35
	s_waitcnt lgkmcnt(0)
	v_max_f32_e32 v40, v40, v40
	v_max_f32_e32 v87, v37, v40
	v_sub_f32_e32 v40, v34, v87
	v_mul_f32_e32 v34, 0x3fb8aa3b, v40
	v_fma_f32 v93, v93, v35, v184
	ds_write_b16 v91, v36
	v_mul_u32_u24_e32 v39, 0x10001, v39
	v_fma_f32 v35, v40, s53, -v34
	v_rndne_f32_e32 v36, v34
	s_waitcnt vmcnt(7)
	v_pk_mul_f16 v192, v44, v39
	v_fmac_f32_e32 v35, 0x32a5705f, v40
	v_sub_f32_e32 v34, v34, v36
	v_add_co_u32_e32 v44, vcc, s6, v110
	s_waitcnt vmcnt(6)
	v_pk_mul_f16 v191, v45, v39
	v_add_f32_e32 v34, v34, v35
	v_addc_co_u32_e32 v45, vcc, v186, v113, vcc
	v_exp_f32_e32 v42, v34
	v_mul_hi_u32_u24_e32 v187, 34, v114
	v_add_co_u32_e32 v34, vcc, v44, v189
	v_addc_co_u32_e32 v35, vcc, v45, v187, vcc
	buffer_store_dword v192, off, s[0:3], 0
	v_cvt_i32_f32_e32 v43, v36
	v_add_co_u32_e32 v36, vcc, v34, v115
	v_addc_co_u32_e32 v37, vcc, 0, v35, vcc
	global_load_ushort v194, v[34:35], off
	global_load_dword v193, v[36:37], off offset:2
	s_waitcnt vmcnt(7)
	v_pk_mul_f16 v34, v188, v39
	v_mul_u32_u24_e32 v190, 34, v116
	v_pk_mul_f16 v41, v46, v39
	buffer_store_dword v34, off, s[0:3], 0 offset:12
	v_sub_f32_e32 v38, v38, v87
	v_mul_hi_u32_u24_e32 v188, 34, v116
	v_add_co_u32_e32 v34, vcc, v44, v190
	buffer_store_dword v41, off, s[0:3], 0 offset:8
	v_mul_f32_e32 v41, 0x3fb8aa3b, v38
	v_addc_co_u32_e32 v35, vcc, v45, v188, vcc
	v_ldexp_f32 v39, v42, v43
	v_fma_f32 v42, v38, s53, -v41
	v_rndne_f32_e32 v43, v41
	v_add_co_u32_e32 v36, vcc, v34, v117
	v_fmac_f32_e32 v42, 0x32a5705f, v38
	v_addc_co_u32_e32 v37, vcc, 0, v35, vcc
	global_load_ushort v196, v[34:35], off
	global_load_dword v195, v[36:37], off offset:2
	v_sub_f32_e32 v34, v41, v43
	v_add_f32_e32 v34, v34, v42
	v_exp_f32_e32 v34, v34
	v_cvt_i32_f32_e32 v35, v43
	v_cmp_ngt_f32_e32 vcc, s54, v40
	v_cndmask_b32_e32 v36, 0, v39, vcc
	v_cmp_nlt_f32_e32 vcc, s55, v40
	v_cndmask_b32_e32 v36, v183, v36, vcc
	v_ldexp_f32 v34, v34, v35
	v_cmp_ngt_f32_e32 vcc, s54, v38
	v_cndmask_b32_e32 v34, 0, v34, vcc
	v_cmp_nlt_f32_e32 vcc, s55, v38
	v_cndmask_b32_e32 v185, v183, v34, vcc
	v_cvt_f16_f32_e32 v34, v185
	v_cvt_f16_f32_e32 v35, v36
	v_add_co_u32_e32 v203, vcc, s6, v118
	buffer_load_dword v197, off, s[0:3], 0 offset:8
	buffer_load_dword v198, off, s[0:3], 0 offset:12
	v_addc_co_u32_e32 v204, vcc, v186, v119, vcc
	ds_write_b16 v91, v34 offset:256
	v_add_co_u32_e32 v34, vcc, v203, v189
	v_mul_u32_u24_e32 v38, 0x10001, v35
	v_addc_co_u32_e32 v35, vcc, v204, v187, vcc
	buffer_store_dword v191, off, s[0:3], 0 offset:4
	v_fma_f32 v94, v94, v36, v185
	v_add_co_u32_e32 v36, vcc, v34, v115
	s_waitcnt vmcnt(13)
	v_pk_mul_f16 v205, v199, v38
	s_waitcnt vmcnt(11)
	v_pk_mul_f16 v206, v200, v38
	v_addc_co_u32_e32 v37, vcc, 0, v35, vcc
	global_load_ushort v200, v[34:35], off
	global_load_dword v199, v[36:37], off offset:2
	v_pk_mul_f16 v207, v201, v38
	v_add_co_u32_e32 v201, vcc, v203, v190
	s_waitcnt vmcnt(12)
	v_pk_mul_f16 v208, v202, v38
	v_addc_co_u32_e32 v202, vcc, v204, v188, vcc
	buffer_store_dword v207, off, s[0:3], 0 offset:24
	buffer_store_dword v208, off, s[0:3], 0 offset:28
	v_add_co_u32_e32 v203, vcc, v201, v117
	ds_read_b128 v[42:45], v112
	ds_read_b128 v[34:37], v112 offset:16
	ds_read_b128 v[46:49], v112 offset:256
	;; [unrolled: 1-line block ×3, first 2 shown]
	v_addc_co_u32_e32 v204, vcc, 0, v202, vcc
	global_load_ushort v201, v[201:202], off
	s_nop 0
	global_load_dword v202, v[203:204], off offset:2
	s_waitcnt lgkmcnt(3)
	v_mul_u32_u24_sdwa v209, v42, s57 dst_sel:DWORD dst_unused:UNUSED_PAD src0_sel:WORD_0 src1_sel:DWORD
	s_waitcnt lgkmcnt(1)
	v_mul_u32_u24_sdwa v210, v46, s57 dst_sel:DWORD dst_unused:UNUSED_PAD src0_sel:WORD_0 src1_sel:DWORD
	v_mul_u32_u24_sdwa v42, v42, s57 dst_sel:DWORD dst_unused:UNUSED_PAD src0_sel:WORD_1 src1_sel:DWORD
	v_mul_u32_u24_sdwa v46, v46, s57 dst_sel:DWORD dst_unused:UNUSED_PAD src0_sel:WORD_1 src1_sel:DWORD
	s_waitcnt vmcnt(14)
	v_mul_u32_u24_e32 v194, 0x10001, v194
	s_waitcnt vmcnt(13)
	v_pk_lshrrev_b16 v203, 8, v193 op_sel:[1,0] op_sel_hi:[0,0]
	v_lshrrev_b32_e32 v204, 16, v203
	v_cvt_f16_i16_sdwa v203, sext(v203) dst_sel:DWORD dst_unused:UNUSED_PAD src0_sel:BYTE_0
	v_cvt_f16_i16_sdwa v204, sext(v204) dst_sel:DWORD dst_unused:UNUSED_PAD src0_sel:BYTE_0
	v_pk_lshrrev_b16 v193, 8, v193 op_sel:[1,1] op_sel_hi:[0,1]
	v_pack_b32_f16 v203, v203, v204
	v_lshrrev_b32_e32 v204, 16, v193
	v_cvt_f16_i16_sdwa v193, sext(v193) dst_sel:DWORD dst_unused:UNUSED_PAD src0_sel:BYTE_0
	v_cvt_f16_i16_sdwa v204, sext(v204) dst_sel:DWORD dst_unused:UNUSED_PAD src0_sel:BYTE_0
	v_pk_mul_f16 v203, v203, v194
	v_pack_b32_f16 v193, v193, v204
	v_pk_mul_f16 v193, v193, v194
	v_pk_fma_f16 v204, v203, v209, v192
	v_pk_fma_f16 v203, v203, v210, v205
	;; [unrolled: 1-line block ×4, first 2 shown]
	buffer_store_dword v204, off, s[0:3], 0
	buffer_store_dword v203, off, s[0:3], 0 offset:16
	buffer_store_dword v205, off, s[0:3], 0 offset:4
	;; [unrolled: 1-line block ×3, first 2 shown]
	s_waitcnt vmcnt(14)
	v_mul_u32_u24_e32 v191, 0x10001, v196
	s_waitcnt vmcnt(13)
	v_pk_lshrrev_b16 v192, 8, v195 op_sel:[1,0] op_sel_hi:[0,0]
	v_lshrrev_b32_e32 v193, 16, v192
	v_cvt_f16_i16_sdwa v192, sext(v192) dst_sel:DWORD dst_unused:UNUSED_PAD src0_sel:BYTE_0
	v_cvt_f16_i16_sdwa v193, sext(v193) dst_sel:DWORD dst_unused:UNUSED_PAD src0_sel:BYTE_0
	v_pack_b32_f16 v192, v192, v193
	v_pk_lshrrev_b16 v193, 8, v195 op_sel:[1,1] op_sel_hi:[0,1]
	v_lshrrev_b32_e32 v194, 16, v193
	v_cvt_f16_i16_sdwa v193, sext(v193) dst_sel:DWORD dst_unused:UNUSED_PAD src0_sel:BYTE_0
	v_cvt_f16_i16_sdwa v194, sext(v194) dst_sel:DWORD dst_unused:UNUSED_PAD src0_sel:BYTE_0
	v_pk_mul_f16 v192, v192, v191
	v_pack_b32_f16 v193, v193, v194
	v_pk_mul_f16 v191, v193, v191
	v_pk_fma_f16 v196, v192, v210, v207
	v_add_co_u32_e32 v207, vcc, s6, v120
	buffer_store_dword v196, off, s[0:3], 0 offset:24
	s_add_i32 s28, s30, s28
	s_add_u32 s46, s46, s42
	s_waitcnt vmcnt(13)
	v_pk_fma_f16 v195, v192, v209, v197
	s_waitcnt vmcnt(12)
	v_pk_fma_f16 v197, v191, v209, v198
	v_pk_fma_f16 v198, v191, v210, v208
	v_addc_co_u32_e32 v208, vcc, v186, v121, vcc
	v_add_co_u32_e32 v191, vcc, v207, v189
	v_addc_co_u32_e32 v192, vcc, v208, v187, vcc
	buffer_store_dword v195, off, s[0:3], 0 offset:8
	buffer_store_dword v197, off, s[0:3], 0 offset:12
	buffer_store_dword v198, off, s[0:3], 0 offset:28
	v_add_co_u32_e32 v193, vcc, v191, v115
	v_addc_co_u32_e32 v194, vcc, 0, v192, vcc
	global_load_ushort v209, v[191:192], off
	global_load_dword v210, v[193:194], off offset:2
	s_waitcnt vmcnt(15)
	v_mul_u32_u24_e32 v200, 0x10001, v200
	s_waitcnt vmcnt(14)
	v_pk_lshrrev_b16 v191, 8, v199 op_sel:[1,0] op_sel_hi:[0,0]
	v_lshrrev_b32_e32 v192, 16, v191
	v_cvt_f16_i16_sdwa v191, sext(v191) dst_sel:DWORD dst_unused:UNUSED_PAD src0_sel:BYTE_0
	v_cvt_f16_i16_sdwa v192, sext(v192) dst_sel:DWORD dst_unused:UNUSED_PAD src0_sel:BYTE_0
	v_pack_b32_f16 v191, v191, v192
	v_pk_mul_f16 v211, v191, v200
	v_pk_lshrrev_b16 v191, 8, v199 op_sel:[1,1] op_sel_hi:[0,1]
	v_lshrrev_b32_e32 v192, 16, v191
	v_cvt_f16_i16_sdwa v199, sext(v191) dst_sel:DWORD dst_unused:UNUSED_PAD src0_sel:BYTE_0
	v_add_co_u32_e32 v191, vcc, v207, v190
	v_cvt_f16_i16_sdwa v212, sext(v192) dst_sel:DWORD dst_unused:UNUSED_PAD src0_sel:BYTE_0
	v_addc_co_u32_e32 v192, vcc, v208, v188, vcc
	v_add_co_u32_e32 v193, vcc, v191, v117
	v_addc_co_u32_e32 v194, vcc, 0, v192, vcc
	global_load_ushort v207, v[191:192], off
	global_load_dword v208, v[193:194], off offset:2
	s_waitcnt vmcnt(12)
	v_pk_lshrrev_b16 v192, 8, v202 op_sel:[1,0] op_sel_hi:[0,0]
	v_pack_b32_f16 v191, v199, v212
	v_lshrrev_b32_e32 v193, 16, v192
	v_pk_mul_f16 v191, v191, v200
	v_cvt_f16_i16_sdwa v192, sext(v192) dst_sel:DWORD dst_unused:UNUSED_PAD src0_sel:BYTE_0
	v_cvt_f16_i16_sdwa v193, sext(v193) dst_sel:DWORD dst_unused:UNUSED_PAD src0_sel:BYTE_0
	v_pk_fma_f16 v199, v211, v42, v204
	v_pk_fma_f16 v200, v211, v46, v203
	;; [unrolled: 1-line block ×4, first 2 shown]
	v_mul_u32_u24_e32 v191, 0x10001, v201
	v_pack_b32_f16 v192, v192, v193
	v_pk_mul_f16 v201, v192, v191
	v_pk_lshrrev_b16 v192, 8, v202 op_sel:[1,1] op_sel_hi:[0,1]
	v_lshrrev_b32_e32 v193, 16, v192
	v_cvt_f16_i16_sdwa v192, sext(v192) dst_sel:DWORD dst_unused:UNUSED_PAD src0_sel:BYTE_0
	v_cvt_f16_i16_sdwa v193, sext(v193) dst_sel:DWORD dst_unused:UNUSED_PAD src0_sel:BYTE_0
	v_add_co_u32_e32 v205, vcc, s6, v122
	v_pack_b32_f16 v192, v192, v193
	v_addc_co_u32_e32 v206, vcc, v186, v123, vcc
	v_pk_mul_f16 v202, v192, v191
	v_add_co_u32_e32 v191, vcc, v205, v189
	v_addc_co_u32_e32 v192, vcc, v206, v187, vcc
	buffer_store_dword v199, off, s[0:3], 0
	buffer_store_dword v200, off, s[0:3], 0 offset:16
	buffer_store_dword v203, off, s[0:3], 0 offset:4
	;; [unrolled: 1-line block ×3, first 2 shown]
	v_add_co_u32_e32 v193, vcc, v191, v115
	v_addc_co_u32_e32 v194, vcc, 0, v192, vcc
	global_load_ushort v211, v[191:192], off
	global_load_dword v212, v[193:194], off offset:2
	v_add_co_u32_e32 v191, vcc, v205, v190
	v_pk_fma_f16 v195, v201, v42, v195
	v_pk_fma_f16 v196, v201, v46, v196
	;; [unrolled: 1-line block ×4, first 2 shown]
	v_addc_co_u32_e32 v192, vcc, v206, v188, vcc
	buffer_store_dword v195, off, s[0:3], 0 offset:8
	buffer_store_dword v196, off, s[0:3], 0 offset:24
	;; [unrolled: 1-line block ×4, first 2 shown]
	v_add_co_u32_e32 v193, vcc, v191, v117
	v_addc_co_u32_e32 v194, vcc, 0, v192, vcc
	global_load_ushort v191, v[191:192], off
	s_nop 0
	global_load_dword v192, v[193:194], off offset:2
	v_mul_u32_u24_sdwa v197, v43, s57 dst_sel:DWORD dst_unused:UNUSED_PAD src0_sel:WORD_0 src1_sel:DWORD
	v_mul_u32_u24_sdwa v198, v47, s57 dst_sel:DWORD dst_unused:UNUSED_PAD src0_sel:WORD_0 src1_sel:DWORD
	s_addc_u32 s47, s47, 0
	s_waitcnt vmcnt(15)
	v_mul_u32_u24_e32 v193, 0x10001, v209
	s_waitcnt vmcnt(14)
	v_pk_lshrrev_b16 v194, 8, v210 op_sel:[1,0] op_sel_hi:[0,0]
	v_lshrrev_b32_e32 v201, 16, v194
	v_cvt_f16_i16_sdwa v194, sext(v194) dst_sel:DWORD dst_unused:UNUSED_PAD src0_sel:BYTE_0
	v_cvt_f16_i16_sdwa v201, sext(v201) dst_sel:DWORD dst_unused:UNUSED_PAD src0_sel:BYTE_0
	v_pack_b32_f16 v194, v194, v201
	v_pk_lshrrev_b16 v201, 8, v210 op_sel:[1,1] op_sel_hi:[0,1]
	v_lshrrev_b32_e32 v202, 16, v201
	v_cvt_f16_i16_sdwa v201, sext(v201) dst_sel:DWORD dst_unused:UNUSED_PAD src0_sel:BYTE_0
	v_cvt_f16_i16_sdwa v202, sext(v202) dst_sel:DWORD dst_unused:UNUSED_PAD src0_sel:BYTE_0
	v_pack_b32_f16 v201, v201, v202
	v_pk_mul_f16 v194, v194, v193
	v_pk_mul_f16 v193, v201, v193
	v_pk_fma_f16 v199, v194, v197, v199
	v_pk_fma_f16 v194, v194, v198, v200
	;; [unrolled: 1-line block ×4, first 2 shown]
	buffer_store_dword v199, off, s[0:3], 0
	buffer_store_dword v194, off, s[0:3], 0 offset:16
	buffer_store_dword v200, off, s[0:3], 0 offset:4
	s_waitcnt vmcnt(16)
	v_mul_u32_u24_e32 v201, 0x10001, v207
	s_waitcnt vmcnt(15)
	v_pk_lshrrev_b16 v202, 8, v208 op_sel:[1,0] op_sel_hi:[0,0]
	v_lshrrev_b32_e32 v203, 16, v202
	v_cvt_f16_i16_sdwa v202, sext(v202) dst_sel:DWORD dst_unused:UNUSED_PAD src0_sel:BYTE_0
	v_cvt_f16_i16_sdwa v203, sext(v203) dst_sel:DWORD dst_unused:UNUSED_PAD src0_sel:BYTE_0
	v_pack_b32_f16 v202, v202, v203
	v_pk_lshrrev_b16 v203, 8, v208 op_sel:[1,1] op_sel_hi:[0,1]
	v_lshrrev_b32_e32 v204, 16, v203
	v_cvt_f16_i16_sdwa v203, sext(v203) dst_sel:DWORD dst_unused:UNUSED_PAD src0_sel:BYTE_0
	v_cvt_f16_i16_sdwa v204, sext(v204) dst_sel:DWORD dst_unused:UNUSED_PAD src0_sel:BYTE_0
	v_pack_b32_f16 v203, v203, v204
	v_pk_mul_f16 v202, v202, v201
	v_pk_mul_f16 v201, v203, v201
	v_add_co_u32_e32 v203, vcc, s6, v124
	v_addc_co_u32_e32 v204, vcc, v186, v125, vcc
	v_pk_fma_f16 v195, v202, v197, v195
	v_pk_fma_f16 v197, v201, v197, v42
	v_add_co_u32_e32 v42, vcc, v203, v189
	v_pk_fma_f16 v196, v202, v198, v196
	v_pk_fma_f16 v198, v201, v198, v46
	v_mul_u32_u24_sdwa v201, v43, s57 dst_sel:DWORD dst_unused:UNUSED_PAD src0_sel:WORD_1 src1_sel:DWORD
	v_addc_co_u32_e32 v43, vcc, v204, v187, vcc
	buffer_store_dword v193, off, s[0:3], 0 offset:20
	buffer_store_dword v195, off, s[0:3], 0 offset:8
	;; [unrolled: 1-line block ×5, first 2 shown]
	v_add_co_u32_e32 v46, vcc, v42, v115
	v_mul_u32_u24_sdwa v202, v47, s57 dst_sel:DWORD dst_unused:UNUSED_PAD src0_sel:WORD_1 src1_sel:DWORD
	v_addc_co_u32_e32 v47, vcc, 0, v43, vcc
	global_load_ushort v205, v[42:43], off
	global_load_dword v206, v[46:47], off offset:2
	s_waitcnt vmcnt(16)
	v_pk_lshrrev_b16 v42, 8, v212 op_sel:[1,0] op_sel_hi:[0,0]
	v_lshrrev_b32_e32 v43, 16, v42
	v_cvt_f16_i16_sdwa v42, sext(v42) dst_sel:DWORD dst_unused:UNUSED_PAD src0_sel:BYTE_0
	v_cvt_f16_i16_sdwa v43, sext(v43) dst_sel:DWORD dst_unused:UNUSED_PAD src0_sel:BYTE_0
	v_mul_u32_u24_e32 v207, 0x10001, v211
	v_pack_b32_f16 v42, v42, v43
	v_pk_mul_f16 v208, v42, v207
	v_pk_lshrrev_b16 v42, 8, v212 op_sel:[1,1] op_sel_hi:[0,1]
	v_lshrrev_b32_e32 v43, 16, v42
	v_cvt_f16_i16_sdwa v209, sext(v42) dst_sel:DWORD dst_unused:UNUSED_PAD src0_sel:BYTE_0
	v_add_co_u32_e32 v42, vcc, v203, v190
	v_cvt_f16_i16_sdwa v210, sext(v43) dst_sel:DWORD dst_unused:UNUSED_PAD src0_sel:BYTE_0
	v_addc_co_u32_e32 v43, vcc, v204, v188, vcc
	v_add_co_u32_e32 v46, vcc, v42, v117
	v_addc_co_u32_e32 v47, vcc, 0, v43, vcc
	global_load_ushort v203, v[42:43], off
	global_load_dword v204, v[46:47], off offset:2
	s_waitcnt vmcnt(12)
	v_pk_lshrrev_b16 v43, 8, v192 op_sel:[1,0] op_sel_hi:[0,0]
	v_pack_b32_f16 v42, v209, v210
	v_lshrrev_b32_e32 v46, 16, v43
	v_pk_mul_f16 v42, v42, v207
	v_cvt_f16_i16_sdwa v43, sext(v43) dst_sel:DWORD dst_unused:UNUSED_PAD src0_sel:BYTE_0
	v_cvt_f16_i16_sdwa v46, sext(v46) dst_sel:DWORD dst_unused:UNUSED_PAD src0_sel:BYTE_0
	v_pk_fma_f16 v200, v42, v201, v200
	v_pk_fma_f16 v193, v42, v202, v193
	v_mul_u32_u24_e32 v42, 0x10001, v191
	v_pack_b32_f16 v43, v43, v46
	v_pk_mul_f16 v191, v43, v42
	v_pk_lshrrev_b16 v43, 8, v192 op_sel:[1,1] op_sel_hi:[0,1]
	v_lshrrev_b32_e32 v46, 16, v43
	v_cvt_f16_i16_sdwa v43, sext(v43) dst_sel:DWORD dst_unused:UNUSED_PAD src0_sel:BYTE_0
	v_cvt_f16_i16_sdwa v46, sext(v46) dst_sel:DWORD dst_unused:UNUSED_PAD src0_sel:BYTE_0
	v_add_co_u32_e32 v207, vcc, s6, v126
	v_pk_fma_f16 v199, v208, v201, v199
	v_pk_fma_f16 v194, v208, v202, v194
	v_pack_b32_f16 v43, v43, v46
	v_addc_co_u32_e32 v208, vcc, v186, v127, vcc
	v_pk_mul_f16 v192, v43, v42
	v_add_co_u32_e32 v42, vcc, v207, v189
	v_addc_co_u32_e32 v43, vcc, v208, v187, vcc
	buffer_store_dword v199, off, s[0:3], 0
	buffer_store_dword v194, off, s[0:3], 0 offset:16
	buffer_store_dword v200, off, s[0:3], 0 offset:4
	;; [unrolled: 1-line block ×3, first 2 shown]
	v_add_co_u32_e32 v46, vcc, v42, v115
	v_addc_co_u32_e32 v47, vcc, 0, v43, vcc
	global_load_ushort v209, v[42:43], off
	global_load_dword v210, v[46:47], off offset:2
	v_add_co_u32_e32 v42, vcc, v207, v190
	v_pk_fma_f16 v195, v191, v201, v195
	v_pk_fma_f16 v191, v191, v202, v196
	;; [unrolled: 1-line block ×4, first 2 shown]
	v_addc_co_u32_e32 v43, vcc, v208, v188, vcc
	buffer_store_dword v195, off, s[0:3], 0 offset:8
	buffer_store_dword v191, off, s[0:3], 0 offset:24
	;; [unrolled: 1-line block ×4, first 2 shown]
	v_add_co_u32_e32 v46, vcc, v42, v117
	v_addc_co_u32_e32 v47, vcc, 0, v43, vcc
	global_load_ushort v201, v[42:43], off
	global_load_dword v202, v[46:47], off offset:2
	v_mul_u32_u24_sdwa v197, v44, s57 dst_sel:DWORD dst_unused:UNUSED_PAD src0_sel:WORD_0 src1_sel:DWORD
	v_mul_u32_u24_sdwa v198, v48, s57 dst_sel:DWORD dst_unused:UNUSED_PAD src0_sel:WORD_0 src1_sel:DWORD
	v_mul_u32_u24_sdwa v44, v44, s57 dst_sel:DWORD dst_unused:UNUSED_PAD src0_sel:WORD_1 src1_sel:DWORD
	v_mul_u32_u24_sdwa v48, v48, s57 dst_sel:DWORD dst_unused:UNUSED_PAD src0_sel:WORD_1 src1_sel:DWORD
	s_waitcnt vmcnt(15)
	v_mul_u32_u24_e32 v42, 0x10001, v205
	s_waitcnt vmcnt(14)
	v_pk_lshrrev_b16 v43, 8, v206 op_sel:[1,0] op_sel_hi:[0,0]
	v_lshrrev_b32_e32 v46, 16, v43
	v_cvt_f16_i16_sdwa v43, sext(v43) dst_sel:DWORD dst_unused:UNUSED_PAD src0_sel:BYTE_0
	v_cvt_f16_i16_sdwa v46, sext(v46) dst_sel:DWORD dst_unused:UNUSED_PAD src0_sel:BYTE_0
	v_pack_b32_f16 v43, v43, v46
	v_pk_lshrrev_b16 v46, 8, v206 op_sel:[1,1] op_sel_hi:[0,1]
	v_lshrrev_b32_e32 v47, 16, v46
	v_pk_mul_f16 v43, v43, v42
	v_cvt_f16_i16_sdwa v46, sext(v46) dst_sel:DWORD dst_unused:UNUSED_PAD src0_sel:BYTE_0
	v_cvt_f16_i16_sdwa v47, sext(v47) dst_sel:DWORD dst_unused:UNUSED_PAD src0_sel:BYTE_0
	v_pack_b32_f16 v46, v46, v47
	v_pk_fma_f16 v199, v43, v197, v199
	v_pk_fma_f16 v194, v43, v198, v194
	v_pk_mul_f16 v42, v46, v42
	v_pk_fma_f16 v200, v42, v197, v200
	v_pk_fma_f16 v193, v42, v198, v193
	buffer_store_dword v199, off, s[0:3], 0
	buffer_store_dword v194, off, s[0:3], 0 offset:16
	buffer_store_dword v200, off, s[0:3], 0 offset:4
	s_waitcnt vmcnt(16)
	v_mul_u32_u24_e32 v42, 0x10001, v203
	s_waitcnt vmcnt(15)
	v_pk_lshrrev_b16 v43, 8, v204 op_sel:[1,0] op_sel_hi:[0,0]
	v_lshrrev_b32_e32 v46, 16, v43
	v_cvt_f16_i16_sdwa v43, sext(v43) dst_sel:DWORD dst_unused:UNUSED_PAD src0_sel:BYTE_0
	v_cvt_f16_i16_sdwa v46, sext(v46) dst_sel:DWORD dst_unused:UNUSED_PAD src0_sel:BYTE_0
	v_pack_b32_f16 v43, v43, v46
	v_pk_lshrrev_b16 v46, 8, v204 op_sel:[1,1] op_sel_hi:[0,1]
	v_lshrrev_b32_e32 v47, 16, v46
	v_cvt_f16_i16_sdwa v46, sext(v46) dst_sel:DWORD dst_unused:UNUSED_PAD src0_sel:BYTE_0
	v_cvt_f16_i16_sdwa v47, sext(v47) dst_sel:DWORD dst_unused:UNUSED_PAD src0_sel:BYTE_0
	v_pack_b32_f16 v46, v46, v47
	v_pk_mul_f16 v43, v43, v42
	v_pk_mul_f16 v42, v46, v42
	v_pk_fma_f16 v195, v43, v197, v195
	v_pk_fma_f16 v196, v42, v197, v196
	v_add_co_u32_e32 v197, vcc, s6, v128
	v_pk_fma_f16 v191, v43, v198, v191
	v_pk_fma_f16 v192, v42, v198, v192
	v_addc_co_u32_e32 v198, vcc, v186, v129, vcc
	v_add_co_u32_e32 v42, vcc, v197, v189
	v_addc_co_u32_e32 v43, vcc, v198, v187, vcc
	buffer_store_dword v193, off, s[0:3], 0 offset:20
	buffer_store_dword v195, off, s[0:3], 0 offset:8
	;; [unrolled: 1-line block ×5, first 2 shown]
	v_add_co_u32_e32 v46, vcc, v42, v115
	v_addc_co_u32_e32 v47, vcc, 0, v43, vcc
	global_load_ushort v203, v[42:43], off
	global_load_dword v204, v[46:47], off offset:2
	s_waitcnt vmcnt(17)
	v_mul_u32_u24_e32 v205, 0x10001, v209
	s_waitcnt vmcnt(16)
	v_pk_lshrrev_b16 v42, 8, v210 op_sel:[1,0] op_sel_hi:[0,0]
	v_lshrrev_b32_e32 v43, 16, v42
	v_cvt_f16_i16_sdwa v42, sext(v42) dst_sel:DWORD dst_unused:UNUSED_PAD src0_sel:BYTE_0
	v_cvt_f16_i16_sdwa v43, sext(v43) dst_sel:DWORD dst_unused:UNUSED_PAD src0_sel:BYTE_0
	v_pack_b32_f16 v42, v42, v43
	v_pk_mul_f16 v206, v42, v205
	v_pk_lshrrev_b16 v42, 8, v210 op_sel:[1,1] op_sel_hi:[0,1]
	v_lshrrev_b32_e32 v43, 16, v42
	v_cvt_f16_i16_sdwa v207, sext(v42) dst_sel:DWORD dst_unused:UNUSED_PAD src0_sel:BYTE_0
	v_add_co_u32_e32 v42, vcc, v197, v190
	v_cvt_f16_i16_sdwa v208, sext(v43) dst_sel:DWORD dst_unused:UNUSED_PAD src0_sel:BYTE_0
	v_addc_co_u32_e32 v43, vcc, v198, v188, vcc
	v_add_co_u32_e32 v46, vcc, v42, v117
	v_addc_co_u32_e32 v47, vcc, 0, v43, vcc
	global_load_ushort v197, v[42:43], off
	global_load_dword v198, v[46:47], off offset:2
	s_waitcnt vmcnt(12)
	v_pk_lshrrev_b16 v43, 8, v202 op_sel:[1,0] op_sel_hi:[0,0]
	v_pack_b32_f16 v42, v207, v208
	v_lshrrev_b32_e32 v46, 16, v43
	v_pk_mul_f16 v42, v42, v205
	v_cvt_f16_i16_sdwa v43, sext(v43) dst_sel:DWORD dst_unused:UNUSED_PAD src0_sel:BYTE_0
	v_cvt_f16_i16_sdwa v46, sext(v46) dst_sel:DWORD dst_unused:UNUSED_PAD src0_sel:BYTE_0
	v_pk_fma_f16 v200, v42, v44, v200
	v_pk_fma_f16 v193, v42, v48, v193
	v_mul_u32_u24_e32 v42, 0x10001, v201
	v_pack_b32_f16 v43, v43, v46
	v_pk_mul_f16 v201, v43, v42
	v_pk_lshrrev_b16 v43, 8, v202 op_sel:[1,1] op_sel_hi:[0,1]
	v_lshrrev_b32_e32 v46, 16, v43
	v_cvt_f16_i16_sdwa v43, sext(v43) dst_sel:DWORD dst_unused:UNUSED_PAD src0_sel:BYTE_0
	v_cvt_f16_i16_sdwa v46, sext(v46) dst_sel:DWORD dst_unused:UNUSED_PAD src0_sel:BYTE_0
	v_add_co_u32_e32 v205, vcc, s6, v130
	v_pk_fma_f16 v199, v206, v44, v199
	v_pk_fma_f16 v194, v206, v48, v194
	v_pack_b32_f16 v43, v43, v46
	v_addc_co_u32_e32 v206, vcc, v186, v131, vcc
	v_pk_mul_f16 v202, v43, v42
	v_add_co_u32_e32 v42, vcc, v205, v189
	v_addc_co_u32_e32 v43, vcc, v206, v187, vcc
	buffer_store_dword v199, off, s[0:3], 0
	buffer_store_dword v194, off, s[0:3], 0 offset:16
	buffer_store_dword v200, off, s[0:3], 0 offset:4
	;; [unrolled: 1-line block ×3, first 2 shown]
	v_add_co_u32_e32 v46, vcc, v42, v115
	v_addc_co_u32_e32 v47, vcc, 0, v43, vcc
	global_load_ushort v207, v[42:43], off
	global_load_dword v208, v[46:47], off offset:2
	v_add_co_u32_e32 v42, vcc, v205, v190
	v_pk_fma_f16 v195, v201, v44, v195
	v_pk_fma_f16 v191, v201, v48, v191
	;; [unrolled: 1-line block ×4, first 2 shown]
	v_addc_co_u32_e32 v43, vcc, v206, v188, vcc
	buffer_store_dword v195, off, s[0:3], 0 offset:8
	buffer_store_dword v191, off, s[0:3], 0 offset:24
	;; [unrolled: 1-line block ×4, first 2 shown]
	v_add_co_u32_e32 v46, vcc, v42, v117
	v_addc_co_u32_e32 v47, vcc, 0, v43, vcc
	global_load_ushort v201, v[42:43], off
	s_nop 0
	global_load_dword v46, v[46:47], off offset:2
	v_mul_u32_u24_sdwa v192, v45, s57 dst_sel:DWORD dst_unused:UNUSED_PAD src0_sel:WORD_0 src1_sel:DWORD
	v_mul_u32_u24_sdwa v196, v49, s57 dst_sel:DWORD dst_unused:UNUSED_PAD src0_sel:WORD_0 src1_sel:DWORD
	v_mul_u32_u24_sdwa v49, v49, s57 dst_sel:DWORD dst_unused:UNUSED_PAD src0_sel:WORD_1 src1_sel:DWORD
	s_waitcnt vmcnt(15)
	v_mul_u32_u24_e32 v42, 0x10001, v203
	s_waitcnt vmcnt(14)
	v_pk_lshrrev_b16 v43, 8, v204 op_sel:[1,0] op_sel_hi:[0,0]
	v_lshrrev_b32_e32 v47, 16, v43
	v_cvt_f16_i16_sdwa v43, sext(v43) dst_sel:DWORD dst_unused:UNUSED_PAD src0_sel:BYTE_0
	v_cvt_f16_i16_sdwa v47, sext(v47) dst_sel:DWORD dst_unused:UNUSED_PAD src0_sel:BYTE_0
	v_pack_b32_f16 v43, v43, v47
	v_pk_lshrrev_b16 v47, 8, v204 op_sel:[1,1] op_sel_hi:[0,1]
	v_lshrrev_b32_e32 v202, 16, v47
	v_cvt_f16_i16_sdwa v47, sext(v47) dst_sel:DWORD dst_unused:UNUSED_PAD src0_sel:BYTE_0
	v_cvt_f16_i16_sdwa v202, sext(v202) dst_sel:DWORD dst_unused:UNUSED_PAD src0_sel:BYTE_0
	v_pk_mul_f16 v43, v43, v42
	v_pack_b32_f16 v47, v47, v202
	v_pk_mul_f16 v42, v47, v42
	v_pk_fma_f16 v47, v43, v192, v199
	v_pk_fma_f16 v194, v43, v196, v194
	;; [unrolled: 1-line block ×4, first 2 shown]
	buffer_store_dword v47, off, s[0:3], 0
	buffer_store_dword v194, off, s[0:3], 0 offset:16
	buffer_store_dword v199, off, s[0:3], 0 offset:4
	;; [unrolled: 1-line block ×3, first 2 shown]
	s_waitcnt vmcnt(17)
	v_mul_u32_u24_e32 v42, 0x10001, v197
	s_waitcnt vmcnt(16)
	v_pk_lshrrev_b16 v43, 8, v198 op_sel:[1,0] op_sel_hi:[0,0]
	v_lshrrev_b32_e32 v197, 16, v43
	v_cvt_f16_i16_sdwa v43, sext(v43) dst_sel:DWORD dst_unused:UNUSED_PAD src0_sel:BYTE_0
	v_cvt_f16_i16_sdwa v197, sext(v197) dst_sel:DWORD dst_unused:UNUSED_PAD src0_sel:BYTE_0
	v_pack_b32_f16 v43, v43, v197
	v_pk_lshrrev_b16 v197, 8, v198 op_sel:[1,1] op_sel_hi:[0,1]
	v_lshrrev_b32_e32 v198, 16, v197
	v_cvt_f16_i16_sdwa v197, sext(v197) dst_sel:DWORD dst_unused:UNUSED_PAD src0_sel:BYTE_0
	v_cvt_f16_i16_sdwa v198, sext(v198) dst_sel:DWORD dst_unused:UNUSED_PAD src0_sel:BYTE_0
	v_pack_b32_f16 v197, v197, v198
	v_pk_mul_f16 v43, v43, v42
	v_pk_mul_f16 v42, v197, v42
	v_add_co_u32_e32 v197, vcc, s6, v132
	v_addc_co_u32_e32 v198, vcc, v186, v133, vcc
	v_pk_fma_f16 v195, v43, v192, v195
	v_pk_fma_f16 v192, v42, v192, v44
	v_pk_fma_f16 v48, v42, v196, v48
	v_add_co_u32_e32 v42, vcc, v197, v189
	v_pk_fma_f16 v191, v43, v196, v191
	v_addc_co_u32_e32 v43, vcc, v198, v187, vcc
	buffer_store_dword v195, off, s[0:3], 0 offset:8
	buffer_store_dword v191, off, s[0:3], 0 offset:24
	;; [unrolled: 1-line block ×4, first 2 shown]
	v_add_co_u32_e32 v44, vcc, v42, v115
	v_mul_u32_u24_sdwa v196, v45, s57 dst_sel:DWORD dst_unused:UNUSED_PAD src0_sel:WORD_1 src1_sel:DWORD
	v_addc_co_u32_e32 v45, vcc, 0, v43, vcc
	global_load_ushort v200, v[42:43], off
	global_load_dword v202, v[44:45], off offset:2
	s_waitcnt vmcnt(17)
	v_mul_u32_u24_e32 v203, 0x10001, v207
	s_waitcnt vmcnt(16)
	v_pk_lshrrev_b16 v42, 8, v208 op_sel:[1,0] op_sel_hi:[0,0]
	v_lshrrev_b32_e32 v43, 16, v42
	v_cvt_f16_i16_sdwa v42, sext(v42) dst_sel:DWORD dst_unused:UNUSED_PAD src0_sel:BYTE_0
	v_cvt_f16_i16_sdwa v43, sext(v43) dst_sel:DWORD dst_unused:UNUSED_PAD src0_sel:BYTE_0
	v_pack_b32_f16 v42, v42, v43
	v_pk_mul_f16 v204, v42, v203
	v_pk_lshrrev_b16 v42, 8, v208 op_sel:[1,1] op_sel_hi:[0,1]
	v_lshrrev_b32_e32 v43, 16, v42
	v_cvt_f16_i16_sdwa v205, sext(v42) dst_sel:DWORD dst_unused:UNUSED_PAD src0_sel:BYTE_0
	v_add_co_u32_e32 v42, vcc, v197, v190
	v_cvt_f16_i16_sdwa v206, sext(v43) dst_sel:DWORD dst_unused:UNUSED_PAD src0_sel:BYTE_0
	v_addc_co_u32_e32 v43, vcc, v198, v188, vcc
	v_add_co_u32_e32 v44, vcc, v42, v117
	v_addc_co_u32_e32 v45, vcc, 0, v43, vcc
	global_load_ushort v197, v[42:43], off
	global_load_dword v198, v[44:45], off offset:2
	s_waitcnt vmcnt(12)
	v_pk_lshrrev_b16 v43, 8, v46 op_sel:[1,0] op_sel_hi:[0,0]
	v_pack_b32_f16 v42, v205, v206
	v_lshrrev_b32_e32 v44, 16, v43
	v_pk_mul_f16 v42, v42, v203
	v_cvt_f16_i16_sdwa v43, sext(v43) dst_sel:DWORD dst_unused:UNUSED_PAD src0_sel:BYTE_0
	v_cvt_f16_i16_sdwa v44, sext(v44) dst_sel:DWORD dst_unused:UNUSED_PAD src0_sel:BYTE_0
	v_pk_fma_f16 v199, v42, v196, v199
	v_pk_fma_f16 v193, v42, v49, v193
	v_mul_u32_u24_e32 v42, 0x10001, v201
	v_pack_b32_f16 v43, v43, v44
	v_pk_mul_f16 v201, v43, v42
	v_pk_lshrrev_b16 v43, 8, v46 op_sel:[1,1] op_sel_hi:[0,1]
	v_lshrrev_b32_e32 v44, 16, v43
	v_cvt_f16_i16_sdwa v43, sext(v43) dst_sel:DWORD dst_unused:UNUSED_PAD src0_sel:BYTE_0
	v_cvt_f16_i16_sdwa v44, sext(v44) dst_sel:DWORD dst_unused:UNUSED_PAD src0_sel:BYTE_0
	v_add_co_u32_e32 v203, vcc, s6, v134
	v_pk_fma_f16 v47, v204, v196, v47
	v_pk_fma_f16 v194, v204, v49, v194
	v_pack_b32_f16 v43, v43, v44
	v_addc_co_u32_e32 v204, vcc, v186, v135, vcc
	v_pk_mul_f16 v46, v43, v42
	v_add_co_u32_e32 v42, vcc, v203, v189
	v_addc_co_u32_e32 v43, vcc, v204, v187, vcc
	buffer_store_dword v47, off, s[0:3], 0
	buffer_store_dword v194, off, s[0:3], 0 offset:16
	buffer_store_dword v199, off, s[0:3], 0 offset:4
	;; [unrolled: 1-line block ×3, first 2 shown]
	v_add_co_u32_e32 v44, vcc, v42, v115
	v_addc_co_u32_e32 v45, vcc, 0, v43, vcc
	global_load_ushort v205, v[42:43], off
	global_load_dword v206, v[44:45], off offset:2
	v_add_co_u32_e32 v42, vcc, v203, v190
	v_pk_fma_f16 v195, v201, v196, v195
	v_pk_fma_f16 v191, v201, v49, v191
	;; [unrolled: 1-line block ×4, first 2 shown]
	v_addc_co_u32_e32 v43, vcc, v204, v188, vcc
	buffer_store_dword v195, off, s[0:3], 0 offset:8
	buffer_store_dword v191, off, s[0:3], 0 offset:24
	;; [unrolled: 1-line block ×4, first 2 shown]
	v_add_co_u32_e32 v44, vcc, v42, v117
	v_addc_co_u32_e32 v45, vcc, 0, v43, vcc
	global_load_ushort v196, v[42:43], off
	global_load_dword v201, v[44:45], off offset:2
	v_mul_u32_u24_sdwa v48, v34, s57 dst_sel:DWORD dst_unused:UNUSED_PAD src0_sel:WORD_0 src1_sel:DWORD
	s_waitcnt lgkmcnt(0)
	v_mul_u32_u24_sdwa v49, v38, s57 dst_sel:DWORD dst_unused:UNUSED_PAD src0_sel:WORD_0 src1_sel:DWORD
	v_mul_u32_u24_sdwa v34, v34, s57 dst_sel:DWORD dst_unused:UNUSED_PAD src0_sel:WORD_1 src1_sel:DWORD
	v_mul_u32_u24_sdwa v38, v38, s57 dst_sel:DWORD dst_unused:UNUSED_PAD src0_sel:WORD_1 src1_sel:DWORD
	s_waitcnt vmcnt(15)
	v_mul_u32_u24_e32 v42, 0x10001, v200
	s_waitcnt vmcnt(14)
	v_pk_lshrrev_b16 v43, 8, v202 op_sel:[1,0] op_sel_hi:[0,0]
	v_lshrrev_b32_e32 v44, 16, v43
	v_cvt_f16_i16_sdwa v43, sext(v43) dst_sel:DWORD dst_unused:UNUSED_PAD src0_sel:BYTE_0
	v_cvt_f16_i16_sdwa v44, sext(v44) dst_sel:DWORD dst_unused:UNUSED_PAD src0_sel:BYTE_0
	v_pack_b32_f16 v43, v43, v44
	v_pk_lshrrev_b16 v44, 8, v202 op_sel:[1,1] op_sel_hi:[0,1]
	v_lshrrev_b32_e32 v45, 16, v44
	v_pk_mul_f16 v43, v43, v42
	v_cvt_f16_i16_sdwa v44, sext(v44) dst_sel:DWORD dst_unused:UNUSED_PAD src0_sel:BYTE_0
	v_cvt_f16_i16_sdwa v45, sext(v45) dst_sel:DWORD dst_unused:UNUSED_PAD src0_sel:BYTE_0
	v_pack_b32_f16 v44, v44, v45
	v_pk_fma_f16 v47, v43, v48, v47
	v_pk_fma_f16 v194, v43, v49, v194
	v_pk_mul_f16 v42, v44, v42
	v_pk_fma_f16 v199, v42, v48, v199
	v_pk_fma_f16 v193, v42, v49, v193
	buffer_store_dword v47, off, s[0:3], 0
	buffer_store_dword v194, off, s[0:3], 0 offset:16
	buffer_store_dword v199, off, s[0:3], 0 offset:4
	;; [unrolled: 1-line block ×3, first 2 shown]
	s_waitcnt vmcnt(17)
	v_mul_u32_u24_e32 v42, 0x10001, v197
	s_waitcnt vmcnt(16)
	v_pk_lshrrev_b16 v43, 8, v198 op_sel:[1,0] op_sel_hi:[0,0]
	v_lshrrev_b32_e32 v44, 16, v43
	v_cvt_f16_i16_sdwa v43, sext(v43) dst_sel:DWORD dst_unused:UNUSED_PAD src0_sel:BYTE_0
	v_cvt_f16_i16_sdwa v44, sext(v44) dst_sel:DWORD dst_unused:UNUSED_PAD src0_sel:BYTE_0
	v_pack_b32_f16 v43, v43, v44
	v_pk_lshrrev_b16 v44, 8, v198 op_sel:[1,1] op_sel_hi:[0,1]
	v_lshrrev_b32_e32 v45, 16, v44
	v_cvt_f16_i16_sdwa v44, sext(v44) dst_sel:DWORD dst_unused:UNUSED_PAD src0_sel:BYTE_0
	v_cvt_f16_i16_sdwa v45, sext(v45) dst_sel:DWORD dst_unused:UNUSED_PAD src0_sel:BYTE_0
	v_pack_b32_f16 v44, v44, v45
	v_pk_mul_f16 v43, v43, v42
	v_pk_mul_f16 v42, v44, v42
	v_pk_fma_f16 v191, v43, v49, v191
	v_pk_fma_f16 v46, v42, v49, v46
	v_add_co_u32_e32 v49, vcc, s6, v136
	v_pk_fma_f16 v195, v43, v48, v195
	v_pk_fma_f16 v48, v42, v48, v192
	v_addc_co_u32_e32 v192, vcc, v186, v137, vcc
	v_add_co_u32_e32 v42, vcc, v49, v189
	v_addc_co_u32_e32 v43, vcc, v192, v187, vcc
	buffer_store_dword v195, off, s[0:3], 0 offset:8
	buffer_store_dword v191, off, s[0:3], 0 offset:24
	;; [unrolled: 1-line block ×4, first 2 shown]
	v_add_co_u32_e32 v44, vcc, v42, v115
	v_addc_co_u32_e32 v45, vcc, 0, v43, vcc
	global_load_ushort v197, v[42:43], off
	global_load_dword v198, v[44:45], off offset:2
	s_waitcnt vmcnt(17)
	v_mul_u32_u24_e32 v200, 0x10001, v205
	s_waitcnt vmcnt(16)
	v_pk_lshrrev_b16 v42, 8, v206 op_sel:[1,0] op_sel_hi:[0,0]
	v_lshrrev_b32_e32 v43, 16, v42
	v_cvt_f16_i16_sdwa v42, sext(v42) dst_sel:DWORD dst_unused:UNUSED_PAD src0_sel:BYTE_0
	v_cvt_f16_i16_sdwa v43, sext(v43) dst_sel:DWORD dst_unused:UNUSED_PAD src0_sel:BYTE_0
	v_pack_b32_f16 v42, v42, v43
	v_pk_mul_f16 v202, v42, v200
	v_pk_lshrrev_b16 v42, 8, v206 op_sel:[1,1] op_sel_hi:[0,1]
	v_lshrrev_b32_e32 v43, 16, v42
	v_cvt_f16_i16_sdwa v203, sext(v42) dst_sel:DWORD dst_unused:UNUSED_PAD src0_sel:BYTE_0
	v_add_co_u32_e32 v42, vcc, v49, v190
	v_cvt_f16_i16_sdwa v204, sext(v43) dst_sel:DWORD dst_unused:UNUSED_PAD src0_sel:BYTE_0
	v_addc_co_u32_e32 v43, vcc, v192, v188, vcc
	v_add_co_u32_e32 v44, vcc, v42, v117
	v_addc_co_u32_e32 v45, vcc, 0, v43, vcc
	global_load_ushort v49, v[42:43], off
	global_load_dword v192, v[44:45], off offset:2
	s_waitcnt vmcnt(12)
	v_pk_lshrrev_b16 v43, 8, v201 op_sel:[1,0] op_sel_hi:[0,0]
	v_pack_b32_f16 v42, v203, v204
	v_lshrrev_b32_e32 v44, 16, v43
	v_pk_mul_f16 v42, v42, v200
	v_cvt_f16_i16_sdwa v43, sext(v43) dst_sel:DWORD dst_unused:UNUSED_PAD src0_sel:BYTE_0
	v_cvt_f16_i16_sdwa v44, sext(v44) dst_sel:DWORD dst_unused:UNUSED_PAD src0_sel:BYTE_0
	v_pk_fma_f16 v199, v42, v34, v199
	v_pk_fma_f16 v193, v42, v38, v193
	v_mul_u32_u24_e32 v42, 0x10001, v196
	v_pack_b32_f16 v43, v43, v44
	v_pk_mul_f16 v196, v43, v42
	v_pk_lshrrev_b16 v43, 8, v201 op_sel:[1,1] op_sel_hi:[0,1]
	v_lshrrev_b32_e32 v44, 16, v43
	v_cvt_f16_i16_sdwa v43, sext(v43) dst_sel:DWORD dst_unused:UNUSED_PAD src0_sel:BYTE_0
	v_cvt_f16_i16_sdwa v44, sext(v44) dst_sel:DWORD dst_unused:UNUSED_PAD src0_sel:BYTE_0
	v_add_co_u32_e32 v201, vcc, s6, v138
	v_pk_fma_f16 v47, v202, v34, v47
	v_pk_fma_f16 v194, v202, v38, v194
	v_pack_b32_f16 v43, v43, v44
	v_addc_co_u32_e32 v202, vcc, v186, v139, vcc
	v_pk_mul_f16 v200, v43, v42
	v_add_co_u32_e32 v42, vcc, v201, v189
	v_addc_co_u32_e32 v43, vcc, v202, v187, vcc
	buffer_store_dword v47, off, s[0:3], 0
	buffer_store_dword v194, off, s[0:3], 0 offset:16
	buffer_store_dword v199, off, s[0:3], 0 offset:4
	;; [unrolled: 1-line block ×3, first 2 shown]
	v_add_co_u32_e32 v44, vcc, v42, v115
	v_addc_co_u32_e32 v45, vcc, 0, v43, vcc
	global_load_ushort v203, v[42:43], off
	global_load_dword v204, v[44:45], off offset:2
	v_add_co_u32_e32 v42, vcc, v201, v190
	v_pk_fma_f16 v195, v196, v34, v195
	v_pk_fma_f16 v191, v196, v38, v191
	;; [unrolled: 1-line block ×4, first 2 shown]
	v_addc_co_u32_e32 v43, vcc, v202, v188, vcc
	buffer_store_dword v195, off, s[0:3], 0 offset:8
	buffer_store_dword v191, off, s[0:3], 0 offset:24
	buffer_store_dword v34, off, s[0:3], 0 offset:12
	buffer_store_dword v38, off, s[0:3], 0 offset:28
	v_add_co_u32_e32 v44, vcc, v42, v117
	v_addc_co_u32_e32 v45, vcc, 0, v43, vcc
	global_load_ushort v42, v[42:43], off
	s_nop 0
	global_load_dword v43, v[44:45], off offset:2
	v_mul_u32_u24_sdwa v46, v35, s57 dst_sel:DWORD dst_unused:UNUSED_PAD src0_sel:WORD_0 src1_sel:DWORD
	v_mul_u32_u24_sdwa v48, v39, s57 dst_sel:DWORD dst_unused:UNUSED_PAD src0_sel:WORD_0 src1_sel:DWORD
	s_waitcnt vmcnt(15)
	v_mul_u32_u24_e32 v44, 0x10001, v197
	s_waitcnt vmcnt(14)
	v_pk_lshrrev_b16 v45, 8, v198 op_sel:[1,0] op_sel_hi:[0,0]
	v_lshrrev_b32_e32 v196, 16, v45
	v_cvt_f16_i16_sdwa v45, sext(v45) dst_sel:DWORD dst_unused:UNUSED_PAD src0_sel:BYTE_0
	v_cvt_f16_i16_sdwa v196, sext(v196) dst_sel:DWORD dst_unused:UNUSED_PAD src0_sel:BYTE_0
	v_pack_b32_f16 v45, v45, v196
	v_pk_lshrrev_b16 v196, 8, v198 op_sel:[1,1] op_sel_hi:[0,1]
	v_lshrrev_b32_e32 v197, 16, v196
	v_cvt_f16_i16_sdwa v196, sext(v196) dst_sel:DWORD dst_unused:UNUSED_PAD src0_sel:BYTE_0
	v_cvt_f16_i16_sdwa v197, sext(v197) dst_sel:DWORD dst_unused:UNUSED_PAD src0_sel:BYTE_0
	v_pack_b32_f16 v196, v196, v197
	v_pk_mul_f16 v45, v45, v44
	v_pk_mul_f16 v44, v196, v44
	v_pk_fma_f16 v47, v45, v46, v47
	v_pk_fma_f16 v45, v45, v48, v194
	;; [unrolled: 1-line block ×4, first 2 shown]
	buffer_store_dword v47, off, s[0:3], 0
	buffer_store_dword v45, off, s[0:3], 0 offset:16
	buffer_store_dword v194, off, s[0:3], 0 offset:4
	;; [unrolled: 1-line block ×3, first 2 shown]
	s_waitcnt vmcnt(17)
	v_mul_u32_u24_e32 v49, 0x10001, v49
	s_waitcnt vmcnt(16)
	v_pk_lshrrev_b16 v193, 8, v192 op_sel:[1,0] op_sel_hi:[0,0]
	v_lshrrev_b32_e32 v196, 16, v193
	v_cvt_f16_i16_sdwa v193, sext(v193) dst_sel:DWORD dst_unused:UNUSED_PAD src0_sel:BYTE_0
	v_cvt_f16_i16_sdwa v196, sext(v196) dst_sel:DWORD dst_unused:UNUSED_PAD src0_sel:BYTE_0
	v_pk_lshrrev_b16 v192, 8, v192 op_sel:[1,1] op_sel_hi:[0,1]
	v_pack_b32_f16 v193, v193, v196
	v_lshrrev_b32_e32 v196, 16, v192
	v_cvt_f16_i16_sdwa v192, sext(v192) dst_sel:DWORD dst_unused:UNUSED_PAD src0_sel:BYTE_0
	v_cvt_f16_i16_sdwa v196, sext(v196) dst_sel:DWORD dst_unused:UNUSED_PAD src0_sel:BYTE_0
	v_pk_mul_f16 v193, v193, v49
	v_pack_b32_f16 v192, v192, v196
	v_pk_mul_f16 v49, v192, v49
	v_pk_fma_f16 v192, v193, v46, v195
	v_add_co_u32_e32 v195, vcc, s6, v140
	v_addc_co_u32_e32 v196, vcc, v186, v141, vcc
	v_pk_fma_f16 v46, v49, v46, v34
	v_add_co_u32_e32 v34, vcc, v195, v189
	v_pk_fma_f16 v191, v193, v48, v191
	v_pk_fma_f16 v48, v49, v48, v38
	v_mul_u32_u24_sdwa v49, v35, s57 dst_sel:DWORD dst_unused:UNUSED_PAD src0_sel:WORD_1 src1_sel:DWORD
	v_addc_co_u32_e32 v35, vcc, v196, v187, vcc
	buffer_store_dword v192, off, s[0:3], 0 offset:8
	buffer_store_dword v191, off, s[0:3], 0 offset:24
	;; [unrolled: 1-line block ×4, first 2 shown]
	v_add_co_u32_e32 v38, vcc, v34, v115
	v_mul_u32_u24_sdwa v193, v39, s57 dst_sel:DWORD dst_unused:UNUSED_PAD src0_sel:WORD_1 src1_sel:DWORD
	v_addc_co_u32_e32 v39, vcc, 0, v35, vcc
	global_load_ushort v197, v[34:35], off
	global_load_dword v198, v[38:39], off offset:2
	s_waitcnt vmcnt(17)
	v_mul_u32_u24_e32 v199, 0x10001, v203
	s_waitcnt vmcnt(16)
	v_pk_lshrrev_b16 v34, 8, v204 op_sel:[1,0] op_sel_hi:[0,0]
	v_lshrrev_b32_e32 v35, 16, v34
	v_cvt_f16_i16_sdwa v34, sext(v34) dst_sel:DWORD dst_unused:UNUSED_PAD src0_sel:BYTE_0
	v_cvt_f16_i16_sdwa v35, sext(v35) dst_sel:DWORD dst_unused:UNUSED_PAD src0_sel:BYTE_0
	v_pack_b32_f16 v34, v34, v35
	v_pk_mul_f16 v200, v34, v199
	v_pk_lshrrev_b16 v34, 8, v204 op_sel:[1,1] op_sel_hi:[0,1]
	v_lshrrev_b32_e32 v35, 16, v34
	v_cvt_f16_i16_sdwa v201, sext(v34) dst_sel:DWORD dst_unused:UNUSED_PAD src0_sel:BYTE_0
	v_add_co_u32_e32 v34, vcc, v195, v190
	v_cvt_f16_i16_sdwa v202, sext(v35) dst_sel:DWORD dst_unused:UNUSED_PAD src0_sel:BYTE_0
	v_addc_co_u32_e32 v35, vcc, v196, v188, vcc
	v_add_co_u32_e32 v38, vcc, v34, v117
	v_addc_co_u32_e32 v39, vcc, 0, v35, vcc
	global_load_ushort v195, v[34:35], off
	global_load_dword v196, v[38:39], off offset:2
	s_waitcnt vmcnt(12)
	v_pk_lshrrev_b16 v35, 8, v43 op_sel:[1,0] op_sel_hi:[0,0]
	v_pack_b32_f16 v34, v201, v202
	v_lshrrev_b32_e32 v38, 16, v35
	v_pk_mul_f16 v34, v34, v199
	v_cvt_f16_i16_sdwa v35, sext(v35) dst_sel:DWORD dst_unused:UNUSED_PAD src0_sel:BYTE_0
	v_cvt_f16_i16_sdwa v38, sext(v38) dst_sel:DWORD dst_unused:UNUSED_PAD src0_sel:BYTE_0
	v_pk_fma_f16 v194, v34, v49, v194
	v_pk_fma_f16 v44, v34, v193, v44
	v_mul_u32_u24_e32 v34, 0x10001, v42
	v_pack_b32_f16 v35, v35, v38
	v_pk_mul_f16 v42, v35, v34
	v_pk_lshrrev_b16 v35, 8, v43 op_sel:[1,1] op_sel_hi:[0,1]
	v_lshrrev_b32_e32 v38, 16, v35
	v_cvt_f16_i16_sdwa v35, sext(v35) dst_sel:DWORD dst_unused:UNUSED_PAD src0_sel:BYTE_0
	v_cvt_f16_i16_sdwa v38, sext(v38) dst_sel:DWORD dst_unused:UNUSED_PAD src0_sel:BYTE_0
	v_add_co_u32_e32 v199, vcc, s6, v142
	v_pk_fma_f16 v47, v200, v49, v47
	v_pk_fma_f16 v45, v200, v193, v45
	v_pack_b32_f16 v35, v35, v38
	v_addc_co_u32_e32 v200, vcc, v186, v143, vcc
	v_pk_mul_f16 v43, v35, v34
	v_add_co_u32_e32 v34, vcc, v199, v189
	v_addc_co_u32_e32 v35, vcc, v200, v187, vcc
	buffer_store_dword v47, off, s[0:3], 0
	buffer_store_dword v45, off, s[0:3], 0 offset:16
	buffer_store_dword v194, off, s[0:3], 0 offset:4
	;; [unrolled: 1-line block ×3, first 2 shown]
	v_add_co_u32_e32 v38, vcc, v34, v115
	v_addc_co_u32_e32 v39, vcc, 0, v35, vcc
	global_load_ushort v201, v[34:35], off
	global_load_dword v202, v[38:39], off offset:2
	v_add_co_u32_e32 v34, vcc, v199, v190
	v_pk_fma_f16 v192, v42, v49, v192
	v_pk_fma_f16 v42, v42, v193, v191
	v_pk_fma_f16 v46, v43, v49, v46
	v_pk_fma_f16 v43, v43, v193, v48
	v_addc_co_u32_e32 v35, vcc, v200, v188, vcc
	buffer_store_dword v192, off, s[0:3], 0 offset:8
	buffer_store_dword v42, off, s[0:3], 0 offset:24
	;; [unrolled: 1-line block ×4, first 2 shown]
	v_add_co_u32_e32 v38, vcc, v34, v117
	v_addc_co_u32_e32 v39, vcc, 0, v35, vcc
	global_load_ushort v191, v[34:35], off
	global_load_dword v193, v[38:39], off offset:2
	v_mul_u32_u24_sdwa v48, v36, s57 dst_sel:DWORD dst_unused:UNUSED_PAD src0_sel:WORD_0 src1_sel:DWORD
	v_mul_u32_u24_sdwa v49, v40, s57 dst_sel:DWORD dst_unused:UNUSED_PAD src0_sel:WORD_0 src1_sel:DWORD
	v_mul_u32_u24_sdwa v36, v36, s57 dst_sel:DWORD dst_unused:UNUSED_PAD src0_sel:WORD_1 src1_sel:DWORD
	v_mul_u32_u24_sdwa v40, v40, s57 dst_sel:DWORD dst_unused:UNUSED_PAD src0_sel:WORD_1 src1_sel:DWORD
	s_waitcnt vmcnt(15)
	v_mul_u32_u24_e32 v34, 0x10001, v197
	s_waitcnt vmcnt(14)
	v_pk_lshrrev_b16 v35, 8, v198 op_sel:[1,0] op_sel_hi:[0,0]
	v_lshrrev_b32_e32 v38, 16, v35
	v_cvt_f16_i16_sdwa v35, sext(v35) dst_sel:DWORD dst_unused:UNUSED_PAD src0_sel:BYTE_0
	v_cvt_f16_i16_sdwa v38, sext(v38) dst_sel:DWORD dst_unused:UNUSED_PAD src0_sel:BYTE_0
	v_pack_b32_f16 v35, v35, v38
	v_pk_lshrrev_b16 v38, 8, v198 op_sel:[1,1] op_sel_hi:[0,1]
	v_lshrrev_b32_e32 v39, 16, v38
	v_pk_mul_f16 v35, v35, v34
	v_cvt_f16_i16_sdwa v38, sext(v38) dst_sel:DWORD dst_unused:UNUSED_PAD src0_sel:BYTE_0
	v_cvt_f16_i16_sdwa v39, sext(v39) dst_sel:DWORD dst_unused:UNUSED_PAD src0_sel:BYTE_0
	v_pack_b32_f16 v38, v38, v39
	v_pk_fma_f16 v47, v35, v48, v47
	v_pk_fma_f16 v45, v35, v49, v45
	v_pk_mul_f16 v34, v38, v34
	v_pk_fma_f16 v194, v34, v48, v194
	v_pk_fma_f16 v44, v34, v49, v44
	buffer_store_dword v47, off, s[0:3], 0
	buffer_store_dword v45, off, s[0:3], 0 offset:16
	buffer_store_dword v194, off, s[0:3], 0 offset:4
	s_waitcnt vmcnt(16)
	v_mul_u32_u24_e32 v34, 0x10001, v195
	s_waitcnt vmcnt(15)
	v_pk_lshrrev_b16 v35, 8, v196 op_sel:[1,0] op_sel_hi:[0,0]
	v_lshrrev_b32_e32 v38, 16, v35
	v_cvt_f16_i16_sdwa v35, sext(v35) dst_sel:DWORD dst_unused:UNUSED_PAD src0_sel:BYTE_0
	v_cvt_f16_i16_sdwa v38, sext(v38) dst_sel:DWORD dst_unused:UNUSED_PAD src0_sel:BYTE_0
	v_pack_b32_f16 v35, v35, v38
	v_pk_lshrrev_b16 v38, 8, v196 op_sel:[1,1] op_sel_hi:[0,1]
	v_lshrrev_b32_e32 v39, 16, v38
	v_cvt_f16_i16_sdwa v38, sext(v38) dst_sel:DWORD dst_unused:UNUSED_PAD src0_sel:BYTE_0
	v_cvt_f16_i16_sdwa v39, sext(v39) dst_sel:DWORD dst_unused:UNUSED_PAD src0_sel:BYTE_0
	v_pack_b32_f16 v38, v38, v39
	v_pk_mul_f16 v35, v35, v34
	v_pk_mul_f16 v34, v38, v34
	v_pk_fma_f16 v192, v35, v48, v192
	v_pk_fma_f16 v46, v34, v48, v46
	v_add_co_u32_e32 v48, vcc, s6, v144
	v_pk_fma_f16 v42, v35, v49, v42
	v_pk_fma_f16 v43, v34, v49, v43
	v_addc_co_u32_e32 v49, vcc, v186, v145, vcc
	v_add_co_u32_e32 v34, vcc, v48, v189
	v_addc_co_u32_e32 v35, vcc, v49, v187, vcc
	buffer_store_dword v44, off, s[0:3], 0 offset:20
	buffer_store_dword v192, off, s[0:3], 0 offset:8
	buffer_store_dword v42, off, s[0:3], 0 offset:24
	buffer_store_dword v46, off, s[0:3], 0 offset:12
	buffer_store_dword v43, off, s[0:3], 0 offset:28
	v_add_co_u32_e32 v38, vcc, v34, v115
	v_addc_co_u32_e32 v39, vcc, 0, v35, vcc
	global_load_ushort v195, v[34:35], off
	global_load_dword v196, v[38:39], off offset:2
	s_waitcnt vmcnt(17)
	v_mul_u32_u24_e32 v197, 0x10001, v201
	s_waitcnt vmcnt(16)
	v_pk_lshrrev_b16 v34, 8, v202 op_sel:[1,0] op_sel_hi:[0,0]
	v_lshrrev_b32_e32 v35, 16, v34
	v_cvt_f16_i16_sdwa v34, sext(v34) dst_sel:DWORD dst_unused:UNUSED_PAD src0_sel:BYTE_0
	v_cvt_f16_i16_sdwa v35, sext(v35) dst_sel:DWORD dst_unused:UNUSED_PAD src0_sel:BYTE_0
	v_pack_b32_f16 v34, v34, v35
	v_pk_mul_f16 v198, v34, v197
	v_pk_lshrrev_b16 v34, 8, v202 op_sel:[1,1] op_sel_hi:[0,1]
	v_lshrrev_b32_e32 v35, 16, v34
	v_cvt_f16_i16_sdwa v199, sext(v34) dst_sel:DWORD dst_unused:UNUSED_PAD src0_sel:BYTE_0
	v_add_co_u32_e32 v34, vcc, v48, v190
	v_cvt_f16_i16_sdwa v200, sext(v35) dst_sel:DWORD dst_unused:UNUSED_PAD src0_sel:BYTE_0
	v_addc_co_u32_e32 v35, vcc, v49, v188, vcc
	v_add_co_u32_e32 v38, vcc, v34, v117
	v_addc_co_u32_e32 v39, vcc, 0, v35, vcc
	global_load_ushort v48, v[34:35], off
	global_load_dword v49, v[38:39], off offset:2
	v_pack_b32_f16 v34, v199, v200
	v_pk_mul_f16 v34, v34, v197
	v_add_co_u32_e32 v197, vcc, s6, v146
	v_pk_fma_f16 v47, v198, v36, v47
	v_pk_fma_f16 v45, v198, v40, v45
	v_addc_co_u32_e32 v198, vcc, v186, v147, vcc
	v_pk_fma_f16 v194, v34, v36, v194
	v_pk_fma_f16 v44, v34, v40, v44
	v_add_co_u32_e32 v34, vcc, v197, v189
	v_addc_co_u32_e32 v35, vcc, v198, v187, vcc
	buffer_store_dword v47, off, s[0:3], 0
	buffer_store_dword v45, off, s[0:3], 0 offset:16
	buffer_store_dword v194, off, s[0:3], 0 offset:4
	v_add_co_u32_e32 v38, vcc, v34, v115
	v_addc_co_u32_e32 v39, vcc, 0, v35, vcc
	global_load_ushort v199, v[34:35], off
	global_load_dword v200, v[38:39], off offset:2
	s_waitcnt vmcnt(17)
	v_pk_lshrrev_b16 v35, 8, v193 op_sel:[1,0] op_sel_hi:[0,0]
	v_lshrrev_b32_e32 v38, 16, v35
	v_cvt_f16_i16_sdwa v35, sext(v35) dst_sel:DWORD dst_unused:UNUSED_PAD src0_sel:BYTE_0
	v_cvt_f16_i16_sdwa v38, sext(v38) dst_sel:DWORD dst_unused:UNUSED_PAD src0_sel:BYTE_0
	v_pack_b32_f16 v35, v35, v38
	v_pk_lshrrev_b16 v38, 8, v193 op_sel:[1,1] op_sel_hi:[0,1]
	v_lshrrev_b32_e32 v39, 16, v38
	v_cvt_f16_i16_sdwa v38, sext(v38) dst_sel:DWORD dst_unused:UNUSED_PAD src0_sel:BYTE_0
	v_cvt_f16_i16_sdwa v39, sext(v39) dst_sel:DWORD dst_unused:UNUSED_PAD src0_sel:BYTE_0
	v_mul_u32_u24_e32 v34, 0x10001, v191
	v_pack_b32_f16 v38, v38, v39
	v_pk_mul_f16 v35, v35, v34
	v_pk_mul_f16 v34, v38, v34
	v_pk_fma_f16 v191, v35, v36, v192
	v_pk_fma_f16 v42, v35, v40, v42
	;; [unrolled: 1-line block ×4, first 2 shown]
	v_add_co_u32_e32 v34, vcc, v197, v190
	v_addc_co_u32_e32 v35, vcc, v198, v188, vcc
	buffer_store_dword v44, off, s[0:3], 0 offset:20
	buffer_store_dword v191, off, s[0:3], 0 offset:8
	buffer_store_dword v42, off, s[0:3], 0 offset:24
	buffer_store_dword v36, off, s[0:3], 0 offset:12
	buffer_store_dword v40, off, s[0:3], 0 offset:28
	v_add_co_u32_e32 v38, vcc, v34, v117
	v_addc_co_u32_e32 v39, vcc, 0, v35, vcc
	global_load_ushort v201, v[34:35], off
	s_nop 0
	global_load_dword v38, v[38:39], off offset:2
	v_mul_u32_u24_sdwa v43, v37, s57 dst_sel:DWORD dst_unused:UNUSED_PAD src0_sel:WORD_0 src1_sel:DWORD
	v_mul_u32_u24_sdwa v46, v41, s57 dst_sel:DWORD dst_unused:UNUSED_PAD src0_sel:WORD_0 src1_sel:DWORD
	v_mul_u32_u24_sdwa v41, v41, s57 dst_sel:DWORD dst_unused:UNUSED_PAD src0_sel:WORD_1 src1_sel:DWORD
	s_waitcnt vmcnt(15)
	v_mul_u32_u24_e32 v34, 0x10001, v195
	s_waitcnt vmcnt(14)
	v_pk_lshrrev_b16 v35, 8, v196 op_sel:[1,0] op_sel_hi:[0,0]
	v_lshrrev_b32_e32 v39, 16, v35
	v_cvt_f16_i16_sdwa v35, sext(v35) dst_sel:DWORD dst_unused:UNUSED_PAD src0_sel:BYTE_0
	v_cvt_f16_i16_sdwa v39, sext(v39) dst_sel:DWORD dst_unused:UNUSED_PAD src0_sel:BYTE_0
	v_pack_b32_f16 v35, v35, v39
	v_pk_lshrrev_b16 v39, 8, v196 op_sel:[1,1] op_sel_hi:[0,1]
	v_lshrrev_b32_e32 v192, 16, v39
	v_cvt_f16_i16_sdwa v39, sext(v39) dst_sel:DWORD dst_unused:UNUSED_PAD src0_sel:BYTE_0
	v_cvt_f16_i16_sdwa v192, sext(v192) dst_sel:DWORD dst_unused:UNUSED_PAD src0_sel:BYTE_0
	v_pk_mul_f16 v35, v35, v34
	v_pack_b32_f16 v39, v39, v192
	v_pk_mul_f16 v34, v39, v34
	v_pk_fma_f16 v39, v35, v43, v47
	v_pk_fma_f16 v45, v35, v46, v45
	;; [unrolled: 1-line block ×4, first 2 shown]
	v_add_co_u32_e32 v195, vcc, s6, v148
	v_addc_co_u32_e32 v196, vcc, v186, v149, vcc
	s_waitcnt vmcnt(13)
	v_mul_u32_u24_e32 v34, 0x10001, v48
	s_waitcnt vmcnt(12)
	v_pk_lshrrev_b16 v35, 8, v49 op_sel:[1,0] op_sel_hi:[0,0]
	v_lshrrev_b32_e32 v48, 16, v35
	v_cvt_f16_i16_sdwa v35, sext(v35) dst_sel:DWORD dst_unused:UNUSED_PAD src0_sel:BYTE_0
	v_cvt_f16_i16_sdwa v48, sext(v48) dst_sel:DWORD dst_unused:UNUSED_PAD src0_sel:BYTE_0
	v_pack_b32_f16 v35, v35, v48
	v_pk_lshrrev_b16 v48, 8, v49 op_sel:[1,1] op_sel_hi:[0,1]
	v_lshrrev_b32_e32 v49, 16, v48
	v_cvt_f16_i16_sdwa v48, sext(v48) dst_sel:DWORD dst_unused:UNUSED_PAD src0_sel:BYTE_0
	v_cvt_f16_i16_sdwa v49, sext(v49) dst_sel:DWORD dst_unused:UNUSED_PAD src0_sel:BYTE_0
	v_pack_b32_f16 v48, v48, v49
	v_pk_mul_f16 v35, v35, v34
	v_pk_mul_f16 v34, v48, v34
	v_pk_fma_f16 v48, v35, v43, v191
	v_pk_fma_f16 v43, v34, v43, v36
	;; [unrolled: 1-line block ×4, first 2 shown]
	buffer_store_dword v39, off, s[0:3], 0
	buffer_store_dword v45, off, s[0:3], 0 offset:16
	buffer_store_dword v47, off, s[0:3], 0 offset:4
	;; [unrolled: 1-line block ×5, first 2 shown]
	s_waitcnt vmcnt(13)
	v_pk_lshrrev_b16 v34, 8, v200 op_sel:[1,0] op_sel_hi:[0,0]
	v_lshrrev_b32_e32 v192, 16, v34
	v_cvt_f16_i16_sdwa v194, sext(v34) dst_sel:DWORD dst_unused:UNUSED_PAD src0_sel:BYTE_0
	v_add_co_u32_e32 v34, vcc, v195, v189
	v_addc_co_u32_e32 v35, vcc, v196, v187, vcc
	buffer_store_dword v43, off, s[0:3], 0 offset:12
	buffer_store_dword v40, off, s[0:3], 0 offset:28
	v_add_co_u32_e32 v36, vcc, v34, v115
	v_mul_u32_u24_sdwa v46, v37, s57 dst_sel:DWORD dst_unused:UNUSED_PAD src0_sel:WORD_1 src1_sel:DWORD
	v_addc_co_u32_e32 v37, vcc, 0, v35, vcc
	global_load_ushort v193, v[34:35], off
	global_load_dword v191, v[36:37], off offset:2
	v_cvt_f16_i16_sdwa v34, sext(v192) dst_sel:DWORD dst_unused:UNUSED_PAD src0_sel:BYTE_0
	v_mul_u32_u24_e32 v49, 0x10001, v199
	v_pack_b32_f16 v34, v194, v34
	v_pk_mul_f16 v197, v34, v49
	v_pk_lshrrev_b16 v34, 8, v200 op_sel:[1,1] op_sel_hi:[0,1]
	v_lshrrev_b32_e32 v35, 16, v34
	v_cvt_f16_i16_sdwa v34, sext(v34) dst_sel:DWORD dst_unused:UNUSED_PAD src0_sel:BYTE_0
	v_cvt_f16_i16_sdwa v35, sext(v35) dst_sel:DWORD dst_unused:UNUSED_PAD src0_sel:BYTE_0
	v_pack_b32_f16 v34, v34, v35
	v_pk_mul_f16 v49, v34, v49
	v_add_co_u32_e32 v34, vcc, v195, v190
	v_pk_fma_f16 v192, v197, v46, v39
	v_addc_co_u32_e32 v35, vcc, v196, v188, vcc
	buffer_store_dword v192, off, s[0:3], 0
	v_add_co_u32_e32 v36, vcc, v34, v117
	v_addc_co_u32_e32 v37, vcc, 0, v35, vcc
	global_load_ushort v195, v[34:35], off
	global_load_dword v194, v[36:37], off offset:2
	s_waitcnt vmcnt(13)
	v_pk_lshrrev_b16 v35, 8, v38 op_sel:[1,0] op_sel_hi:[0,0]
	v_lshrrev_b32_e32 v36, 16, v35
	v_cvt_f16_i16_sdwa v35, sext(v35) dst_sel:DWORD dst_unused:UNUSED_PAD src0_sel:BYTE_0
	v_cvt_f16_i16_sdwa v36, sext(v36) dst_sel:DWORD dst_unused:UNUSED_PAD src0_sel:BYTE_0
	v_pack_b32_f16 v35, v35, v36
	v_pk_lshrrev_b16 v36, 8, v38 op_sel:[1,1] op_sel_hi:[0,1]
	v_lshrrev_b32_e32 v37, 16, v36
	v_cvt_f16_i16_sdwa v36, sext(v36) dst_sel:DWORD dst_unused:UNUSED_PAD src0_sel:BYTE_0
	v_cvt_f16_i16_sdwa v37, sext(v37) dst_sel:DWORD dst_unused:UNUSED_PAD src0_sel:BYTE_0
	v_add_co_u32_e32 v203, vcc, s6, v150
	v_mul_u32_u24_e32 v34, 0x10001, v201
	v_pack_b32_f16 v36, v36, v37
	v_addc_co_u32_e32 v204, vcc, v186, v151, vcc
	v_pk_mul_f16 v35, v35, v34
	v_pk_mul_f16 v38, v36, v34
	v_add_co_u32_e32 v34, vcc, v203, v189
	v_pk_fma_f16 v196, v197, v41, v45
	v_pk_fma_f16 v197, v49, v46, v47
	;; [unrolled: 1-line block ×5, first 2 shown]
	v_addc_co_u32_e32 v35, vcc, v204, v187, vcc
	buffer_store_dword v196, off, s[0:3], 0 offset:16
	buffer_store_dword v197, off, s[0:3], 0 offset:4
	;; [unrolled: 1-line block ×5, first 2 shown]
	v_add_co_u32_e32 v36, vcc, v34, v115
	v_addc_co_u32_e32 v37, vcc, 0, v35, vcc
	global_load_ushort v202, v[34:35], off
	global_load_dword v201, v[36:37], off offset:2
	v_add_co_u32_e32 v203, vcc, v203, v190
	v_pk_fma_f16 v207, v38, v46, v43
	v_pk_fma_f16 v208, v38, v41, v40
	v_addc_co_u32_e32 v204, vcc, v204, v188, vcc
	buffer_store_dword v207, off, s[0:3], 0 offset:12
	buffer_store_dword v208, off, s[0:3], 0 offset:28
	v_add_co_u32_e32 v205, vcc, v203, v117
	ds_read_b128 v[42:45], v112 offset:32
	ds_read_b128 v[34:37], v112 offset:48
	;; [unrolled: 1-line block ×4, first 2 shown]
	v_addc_co_u32_e32 v206, vcc, 0, v204, vcc
	global_load_ushort v203, v[203:204], off
	s_nop 0
	global_load_dword v204, v[205:206], off offset:2
	s_waitcnt lgkmcnt(3)
	v_mul_u32_u24_sdwa v209, v42, s57 dst_sel:DWORD dst_unused:UNUSED_PAD src0_sel:WORD_0 src1_sel:DWORD
	s_waitcnt lgkmcnt(1)
	v_mul_u32_u24_sdwa v210, v46, s57 dst_sel:DWORD dst_unused:UNUSED_PAD src0_sel:WORD_0 src1_sel:DWORD
	v_mul_u32_u24_sdwa v42, v42, s57 dst_sel:DWORD dst_unused:UNUSED_PAD src0_sel:WORD_1 src1_sel:DWORD
	v_mul_u32_u24_sdwa v46, v46, s57 dst_sel:DWORD dst_unused:UNUSED_PAD src0_sel:WORD_1 src1_sel:DWORD
	s_waitcnt vmcnt(15)
	v_mul_u32_u24_e32 v193, 0x10001, v193
	s_waitcnt vmcnt(14)
	v_pk_lshrrev_b16 v205, 8, v191 op_sel:[1,0] op_sel_hi:[0,0]
	v_lshrrev_b32_e32 v206, 16, v205
	v_cvt_f16_i16_sdwa v205, sext(v205) dst_sel:DWORD dst_unused:UNUSED_PAD src0_sel:BYTE_0
	v_cvt_f16_i16_sdwa v206, sext(v206) dst_sel:DWORD dst_unused:UNUSED_PAD src0_sel:BYTE_0
	v_pk_lshrrev_b16 v191, 8, v191 op_sel:[1,1] op_sel_hi:[0,1]
	v_pack_b32_f16 v205, v205, v206
	v_lshrrev_b32_e32 v206, 16, v191
	v_pk_mul_f16 v205, v205, v193
	v_cvt_f16_i16_sdwa v191, sext(v191) dst_sel:DWORD dst_unused:UNUSED_PAD src0_sel:BYTE_0
	v_cvt_f16_i16_sdwa v206, sext(v206) dst_sel:DWORD dst_unused:UNUSED_PAD src0_sel:BYTE_0
	v_pack_b32_f16 v191, v191, v206
	v_pk_fma_f16 v206, v205, v209, v192
	v_pk_mul_f16 v191, v191, v193
	v_pk_fma_f16 v197, v191, v209, v197
	v_pk_fma_f16 v198, v191, v210, v198
	;; [unrolled: 1-line block ×3, first 2 shown]
	buffer_store_dword v206, off, s[0:3], 0
	buffer_store_dword v196, off, s[0:3], 0 offset:16
	buffer_store_dword v197, off, s[0:3], 0 offset:4
	;; [unrolled: 1-line block ×3, first 2 shown]
	s_waitcnt vmcnt(16)
	v_mul_u32_u24_e32 v191, 0x10001, v195
	s_waitcnt vmcnt(15)
	v_pk_lshrrev_b16 v192, 8, v194 op_sel:[1,0] op_sel_hi:[0,0]
	v_lshrrev_b32_e32 v193, 16, v192
	v_cvt_f16_i16_sdwa v192, sext(v192) dst_sel:DWORD dst_unused:UNUSED_PAD src0_sel:BYTE_0
	v_cvt_f16_i16_sdwa v193, sext(v193) dst_sel:DWORD dst_unused:UNUSED_PAD src0_sel:BYTE_0
	v_pack_b32_f16 v192, v192, v193
	v_pk_lshrrev_b16 v193, 8, v194 op_sel:[1,1] op_sel_hi:[0,1]
	v_lshrrev_b32_e32 v194, 16, v193
	v_cvt_f16_i16_sdwa v193, sext(v193) dst_sel:DWORD dst_unused:UNUSED_PAD src0_sel:BYTE_0
	v_cvt_f16_i16_sdwa v194, sext(v194) dst_sel:DWORD dst_unused:UNUSED_PAD src0_sel:BYTE_0
	v_pack_b32_f16 v193, v193, v194
	v_pk_mul_f16 v192, v192, v191
	v_pk_mul_f16 v191, v193, v191
	v_pk_fma_f16 v195, v192, v209, v199
	v_pk_fma_f16 v199, v192, v210, v200
	;; [unrolled: 1-line block ×3, first 2 shown]
	v_add_co_u32_e32 v207, vcc, s6, v152
	v_pk_fma_f16 v205, v191, v210, v208
	v_addc_co_u32_e32 v208, vcc, v186, v153, vcc
	v_add_co_u32_e32 v191, vcc, v207, v189
	v_addc_co_u32_e32 v192, vcc, v208, v187, vcc
	buffer_store_dword v195, off, s[0:3], 0 offset:8
	buffer_store_dword v199, off, s[0:3], 0 offset:24
	;; [unrolled: 1-line block ×4, first 2 shown]
	v_add_co_u32_e32 v193, vcc, v191, v115
	v_addc_co_u32_e32 v194, vcc, 0, v192, vcc
	global_load_ushort v209, v[191:192], off
	global_load_dword v210, v[193:194], off offset:2
	s_waitcnt vmcnt(15)
	v_mul_u32_u24_e32 v202, 0x10001, v202
	s_waitcnt vmcnt(14)
	v_pk_lshrrev_b16 v191, 8, v201 op_sel:[1,0] op_sel_hi:[0,0]
	v_lshrrev_b32_e32 v192, 16, v191
	v_cvt_f16_i16_sdwa v191, sext(v191) dst_sel:DWORD dst_unused:UNUSED_PAD src0_sel:BYTE_0
	v_cvt_f16_i16_sdwa v192, sext(v192) dst_sel:DWORD dst_unused:UNUSED_PAD src0_sel:BYTE_0
	v_pack_b32_f16 v191, v191, v192
	v_pk_mul_f16 v211, v191, v202
	v_pk_lshrrev_b16 v191, 8, v201 op_sel:[1,1] op_sel_hi:[0,1]
	v_lshrrev_b32_e32 v192, 16, v191
	v_cvt_f16_i16_sdwa v201, sext(v191) dst_sel:DWORD dst_unused:UNUSED_PAD src0_sel:BYTE_0
	v_add_co_u32_e32 v191, vcc, v207, v190
	v_cvt_f16_i16_sdwa v212, sext(v192) dst_sel:DWORD dst_unused:UNUSED_PAD src0_sel:BYTE_0
	v_addc_co_u32_e32 v192, vcc, v208, v188, vcc
	v_add_co_u32_e32 v193, vcc, v191, v117
	v_addc_co_u32_e32 v194, vcc, 0, v192, vcc
	global_load_ushort v207, v[191:192], off
	global_load_dword v208, v[193:194], off offset:2
	s_waitcnt vmcnt(12)
	v_pk_lshrrev_b16 v192, 8, v204 op_sel:[1,0] op_sel_hi:[0,0]
	v_pack_b32_f16 v191, v201, v212
	v_lshrrev_b32_e32 v193, 16, v192
	v_pk_mul_f16 v191, v191, v202
	v_cvt_f16_i16_sdwa v192, sext(v192) dst_sel:DWORD dst_unused:UNUSED_PAD src0_sel:BYTE_0
	v_cvt_f16_i16_sdwa v193, sext(v193) dst_sel:DWORD dst_unused:UNUSED_PAD src0_sel:BYTE_0
	v_pk_fma_f16 v197, v191, v42, v197
	v_pk_fma_f16 v198, v191, v46, v198
	v_mul_u32_u24_e32 v191, 0x10001, v203
	v_pack_b32_f16 v192, v192, v193
	v_pk_mul_f16 v202, v192, v191
	v_pk_lshrrev_b16 v192, 8, v204 op_sel:[1,1] op_sel_hi:[0,1]
	v_lshrrev_b32_e32 v193, 16, v192
	v_cvt_f16_i16_sdwa v192, sext(v192) dst_sel:DWORD dst_unused:UNUSED_PAD src0_sel:BYTE_0
	v_cvt_f16_i16_sdwa v193, sext(v193) dst_sel:DWORD dst_unused:UNUSED_PAD src0_sel:BYTE_0
	v_add_co_u32_e32 v204, vcc, s6, v154
	v_pk_fma_f16 v201, v211, v42, v206
	v_pack_b32_f16 v192, v192, v193
	v_addc_co_u32_e32 v206, vcc, v186, v155, vcc
	v_pk_mul_f16 v203, v192, v191
	v_add_co_u32_e32 v191, vcc, v204, v189
	v_pk_fma_f16 v196, v211, v46, v196
	v_addc_co_u32_e32 v192, vcc, v206, v187, vcc
	buffer_store_dword v201, off, s[0:3], 0
	buffer_store_dword v196, off, s[0:3], 0 offset:16
	buffer_store_dword v197, off, s[0:3], 0 offset:4
	;; [unrolled: 1-line block ×3, first 2 shown]
	v_add_co_u32_e32 v193, vcc, v191, v115
	v_addc_co_u32_e32 v194, vcc, 0, v192, vcc
	global_load_ushort v211, v[191:192], off
	global_load_dword v212, v[193:194], off offset:2
	v_add_co_u32_e32 v191, vcc, v204, v190
	v_pk_fma_f16 v195, v202, v42, v195
	v_pk_fma_f16 v199, v202, v46, v199
	v_pk_fma_f16 v42, v203, v42, v200
	v_pk_fma_f16 v46, v203, v46, v205
	v_addc_co_u32_e32 v192, vcc, v206, v188, vcc
	buffer_store_dword v195, off, s[0:3], 0 offset:8
	buffer_store_dword v199, off, s[0:3], 0 offset:24
	buffer_store_dword v42, off, s[0:3], 0 offset:12
	buffer_store_dword v46, off, s[0:3], 0 offset:28
	v_add_co_u32_e32 v193, vcc, v191, v117
	v_addc_co_u32_e32 v194, vcc, 0, v192, vcc
	global_load_ushort v191, v[191:192], off
	s_nop 0
	global_load_dword v192, v[193:194], off offset:2
	v_mul_u32_u24_sdwa v200, v43, s57 dst_sel:DWORD dst_unused:UNUSED_PAD src0_sel:WORD_0 src1_sel:DWORD
	v_mul_u32_u24_sdwa v202, v47, s57 dst_sel:DWORD dst_unused:UNUSED_PAD src0_sel:WORD_0 src1_sel:DWORD
	s_waitcnt vmcnt(15)
	v_mul_u32_u24_e32 v193, 0x10001, v209
	s_waitcnt vmcnt(14)
	v_pk_lshrrev_b16 v194, 8, v210 op_sel:[1,0] op_sel_hi:[0,0]
	v_lshrrev_b32_e32 v203, 16, v194
	v_cvt_f16_i16_sdwa v194, sext(v194) dst_sel:DWORD dst_unused:UNUSED_PAD src0_sel:BYTE_0
	v_cvt_f16_i16_sdwa v203, sext(v203) dst_sel:DWORD dst_unused:UNUSED_PAD src0_sel:BYTE_0
	v_pack_b32_f16 v194, v194, v203
	v_pk_lshrrev_b16 v203, 8, v210 op_sel:[1,1] op_sel_hi:[0,1]
	v_lshrrev_b32_e32 v204, 16, v203
	v_cvt_f16_i16_sdwa v203, sext(v203) dst_sel:DWORD dst_unused:UNUSED_PAD src0_sel:BYTE_0
	v_cvt_f16_i16_sdwa v204, sext(v204) dst_sel:DWORD dst_unused:UNUSED_PAD src0_sel:BYTE_0
	v_pack_b32_f16 v203, v203, v204
	v_pk_mul_f16 v194, v194, v193
	v_pk_mul_f16 v193, v203, v193
	v_pk_fma_f16 v201, v194, v200, v201
	v_pk_fma_f16 v194, v194, v202, v196
	;; [unrolled: 1-line block ×4, first 2 shown]
	buffer_store_dword v201, off, s[0:3], 0
	buffer_store_dword v194, off, s[0:3], 0 offset:16
	buffer_store_dword v196, off, s[0:3], 0 offset:4
	buffer_store_dword v193, off, s[0:3], 0 offset:20
	s_waitcnt vmcnt(17)
	v_mul_u32_u24_e32 v197, 0x10001, v207
	s_waitcnt vmcnt(16)
	v_pk_lshrrev_b16 v198, 8, v208 op_sel:[1,0] op_sel_hi:[0,0]
	v_lshrrev_b32_e32 v203, 16, v198
	v_cvt_f16_i16_sdwa v198, sext(v198) dst_sel:DWORD dst_unused:UNUSED_PAD src0_sel:BYTE_0
	v_cvt_f16_i16_sdwa v203, sext(v203) dst_sel:DWORD dst_unused:UNUSED_PAD src0_sel:BYTE_0
	v_pack_b32_f16 v198, v198, v203
	v_pk_lshrrev_b16 v203, 8, v208 op_sel:[1,1] op_sel_hi:[0,1]
	v_lshrrev_b32_e32 v204, 16, v203
	v_cvt_f16_i16_sdwa v203, sext(v203) dst_sel:DWORD dst_unused:UNUSED_PAD src0_sel:BYTE_0
	v_cvt_f16_i16_sdwa v204, sext(v204) dst_sel:DWORD dst_unused:UNUSED_PAD src0_sel:BYTE_0
	v_pack_b32_f16 v203, v203, v204
	v_pk_mul_f16 v198, v198, v197
	v_pk_mul_f16 v197, v203, v197
	v_add_co_u32_e32 v203, vcc, s6, v156
	v_addc_co_u32_e32 v204, vcc, v186, v157, vcc
	v_pk_fma_f16 v195, v198, v200, v195
	v_pk_fma_f16 v198, v198, v202, v199
	;; [unrolled: 1-line block ×3, first 2 shown]
	v_add_co_u32_e32 v42, vcc, v203, v189
	v_pk_fma_f16 v197, v197, v202, v46
	v_mul_u32_u24_sdwa v200, v43, s57 dst_sel:DWORD dst_unused:UNUSED_PAD src0_sel:WORD_1 src1_sel:DWORD
	v_addc_co_u32_e32 v43, vcc, v204, v187, vcc
	buffer_store_dword v195, off, s[0:3], 0 offset:8
	buffer_store_dword v198, off, s[0:3], 0 offset:24
	;; [unrolled: 1-line block ×4, first 2 shown]
	v_add_co_u32_e32 v46, vcc, v42, v115
	v_mul_u32_u24_sdwa v202, v47, s57 dst_sel:DWORD dst_unused:UNUSED_PAD src0_sel:WORD_1 src1_sel:DWORD
	v_addc_co_u32_e32 v47, vcc, 0, v43, vcc
	global_load_ushort v205, v[42:43], off
	global_load_dword v206, v[46:47], off offset:2
	s_waitcnt vmcnt(17)
	v_mul_u32_u24_e32 v207, 0x10001, v211
	s_waitcnt vmcnt(16)
	v_pk_lshrrev_b16 v42, 8, v212 op_sel:[1,0] op_sel_hi:[0,0]
	v_lshrrev_b32_e32 v43, 16, v42
	v_cvt_f16_i16_sdwa v42, sext(v42) dst_sel:DWORD dst_unused:UNUSED_PAD src0_sel:BYTE_0
	v_cvt_f16_i16_sdwa v43, sext(v43) dst_sel:DWORD dst_unused:UNUSED_PAD src0_sel:BYTE_0
	v_pack_b32_f16 v42, v42, v43
	v_pk_mul_f16 v208, v42, v207
	v_pk_lshrrev_b16 v42, 8, v212 op_sel:[1,1] op_sel_hi:[0,1]
	v_lshrrev_b32_e32 v43, 16, v42
	v_cvt_f16_i16_sdwa v209, sext(v42) dst_sel:DWORD dst_unused:UNUSED_PAD src0_sel:BYTE_0
	v_add_co_u32_e32 v42, vcc, v203, v190
	v_cvt_f16_i16_sdwa v210, sext(v43) dst_sel:DWORD dst_unused:UNUSED_PAD src0_sel:BYTE_0
	v_addc_co_u32_e32 v43, vcc, v204, v188, vcc
	v_add_co_u32_e32 v46, vcc, v42, v117
	v_addc_co_u32_e32 v47, vcc, 0, v43, vcc
	global_load_ushort v203, v[42:43], off
	global_load_dword v204, v[46:47], off offset:2
	s_waitcnt vmcnt(12)
	v_pk_lshrrev_b16 v43, 8, v192 op_sel:[1,0] op_sel_hi:[0,0]
	v_pack_b32_f16 v42, v209, v210
	v_lshrrev_b32_e32 v46, 16, v43
	v_pk_mul_f16 v42, v42, v207
	v_cvt_f16_i16_sdwa v43, sext(v43) dst_sel:DWORD dst_unused:UNUSED_PAD src0_sel:BYTE_0
	v_cvt_f16_i16_sdwa v46, sext(v46) dst_sel:DWORD dst_unused:UNUSED_PAD src0_sel:BYTE_0
	v_pk_fma_f16 v196, v42, v200, v196
	v_pk_fma_f16 v193, v42, v202, v193
	v_mul_u32_u24_e32 v42, 0x10001, v191
	v_pack_b32_f16 v43, v43, v46
	v_pk_mul_f16 v191, v43, v42
	v_pk_lshrrev_b16 v43, 8, v192 op_sel:[1,1] op_sel_hi:[0,1]
	v_lshrrev_b32_e32 v46, 16, v43
	v_cvt_f16_i16_sdwa v43, sext(v43) dst_sel:DWORD dst_unused:UNUSED_PAD src0_sel:BYTE_0
	v_cvt_f16_i16_sdwa v46, sext(v46) dst_sel:DWORD dst_unused:UNUSED_PAD src0_sel:BYTE_0
	v_add_co_u32_e32 v207, vcc, s6, v158
	v_pk_fma_f16 v201, v208, v200, v201
	v_pk_fma_f16 v194, v208, v202, v194
	v_pack_b32_f16 v43, v43, v46
	v_addc_co_u32_e32 v208, vcc, v186, v159, vcc
	v_pk_mul_f16 v192, v43, v42
	v_add_co_u32_e32 v42, vcc, v207, v189
	v_addc_co_u32_e32 v43, vcc, v208, v187, vcc
	buffer_store_dword v201, off, s[0:3], 0
	buffer_store_dword v194, off, s[0:3], 0 offset:16
	buffer_store_dword v196, off, s[0:3], 0 offset:4
	;; [unrolled: 1-line block ×3, first 2 shown]
	v_add_co_u32_e32 v46, vcc, v42, v115
	v_addc_co_u32_e32 v47, vcc, 0, v43, vcc
	global_load_ushort v209, v[42:43], off
	global_load_dword v210, v[46:47], off offset:2
	v_add_co_u32_e32 v42, vcc, v207, v190
	v_pk_fma_f16 v195, v191, v200, v195
	v_pk_fma_f16 v191, v191, v202, v198
	v_pk_fma_f16 v198, v192, v200, v199
	v_pk_fma_f16 v192, v192, v202, v197
	v_addc_co_u32_e32 v43, vcc, v208, v188, vcc
	buffer_store_dword v195, off, s[0:3], 0 offset:8
	buffer_store_dword v191, off, s[0:3], 0 offset:24
	;; [unrolled: 1-line block ×4, first 2 shown]
	v_add_co_u32_e32 v46, vcc, v42, v117
	v_addc_co_u32_e32 v47, vcc, 0, v43, vcc
	global_load_ushort v200, v[42:43], off
	global_load_dword v202, v[46:47], off offset:2
	v_mul_u32_u24_sdwa v197, v44, s57 dst_sel:DWORD dst_unused:UNUSED_PAD src0_sel:WORD_0 src1_sel:DWORD
	v_mul_u32_u24_sdwa v199, v48, s57 dst_sel:DWORD dst_unused:UNUSED_PAD src0_sel:WORD_0 src1_sel:DWORD
	v_mul_u32_u24_sdwa v44, v44, s57 dst_sel:DWORD dst_unused:UNUSED_PAD src0_sel:WORD_1 src1_sel:DWORD
	v_mul_u32_u24_sdwa v48, v48, s57 dst_sel:DWORD dst_unused:UNUSED_PAD src0_sel:WORD_1 src1_sel:DWORD
	s_waitcnt vmcnt(15)
	v_mul_u32_u24_e32 v42, 0x10001, v205
	s_waitcnt vmcnt(14)
	v_pk_lshrrev_b16 v43, 8, v206 op_sel:[1,0] op_sel_hi:[0,0]
	v_lshrrev_b32_e32 v46, 16, v43
	v_cvt_f16_i16_sdwa v43, sext(v43) dst_sel:DWORD dst_unused:UNUSED_PAD src0_sel:BYTE_0
	v_cvt_f16_i16_sdwa v46, sext(v46) dst_sel:DWORD dst_unused:UNUSED_PAD src0_sel:BYTE_0
	v_pack_b32_f16 v43, v43, v46
	v_pk_lshrrev_b16 v46, 8, v206 op_sel:[1,1] op_sel_hi:[0,1]
	v_lshrrev_b32_e32 v47, 16, v46
	v_pk_mul_f16 v43, v43, v42
	v_cvt_f16_i16_sdwa v46, sext(v46) dst_sel:DWORD dst_unused:UNUSED_PAD src0_sel:BYTE_0
	v_cvt_f16_i16_sdwa v47, sext(v47) dst_sel:DWORD dst_unused:UNUSED_PAD src0_sel:BYTE_0
	v_pack_b32_f16 v46, v46, v47
	v_pk_fma_f16 v201, v43, v197, v201
	v_pk_fma_f16 v194, v43, v199, v194
	v_pk_mul_f16 v42, v46, v42
	v_pk_fma_f16 v196, v42, v197, v196
	v_pk_fma_f16 v193, v42, v199, v193
	buffer_store_dword v201, off, s[0:3], 0
	buffer_store_dword v194, off, s[0:3], 0 offset:16
	buffer_store_dword v196, off, s[0:3], 0 offset:4
	s_waitcnt vmcnt(16)
	v_mul_u32_u24_e32 v42, 0x10001, v203
	s_waitcnt vmcnt(15)
	v_pk_lshrrev_b16 v43, 8, v204 op_sel:[1,0] op_sel_hi:[0,0]
	v_lshrrev_b32_e32 v46, 16, v43
	v_cvt_f16_i16_sdwa v43, sext(v43) dst_sel:DWORD dst_unused:UNUSED_PAD src0_sel:BYTE_0
	v_cvt_f16_i16_sdwa v46, sext(v46) dst_sel:DWORD dst_unused:UNUSED_PAD src0_sel:BYTE_0
	v_pack_b32_f16 v43, v43, v46
	v_pk_lshrrev_b16 v46, 8, v204 op_sel:[1,1] op_sel_hi:[0,1]
	v_lshrrev_b32_e32 v47, 16, v46
	v_cvt_f16_i16_sdwa v46, sext(v46) dst_sel:DWORD dst_unused:UNUSED_PAD src0_sel:BYTE_0
	v_cvt_f16_i16_sdwa v47, sext(v47) dst_sel:DWORD dst_unused:UNUSED_PAD src0_sel:BYTE_0
	v_pack_b32_f16 v46, v46, v47
	v_pk_mul_f16 v43, v43, v42
	v_pk_mul_f16 v42, v46, v42
	v_pk_fma_f16 v195, v43, v197, v195
	v_pk_fma_f16 v197, v42, v197, v198
	v_add_co_u32_e32 v198, vcc, s6, v160
	v_pk_fma_f16 v191, v43, v199, v191
	v_pk_fma_f16 v192, v42, v199, v192
	v_addc_co_u32_e32 v199, vcc, v186, v161, vcc
	v_add_co_u32_e32 v42, vcc, v198, v189
	v_addc_co_u32_e32 v43, vcc, v199, v187, vcc
	buffer_store_dword v193, off, s[0:3], 0 offset:20
	buffer_store_dword v195, off, s[0:3], 0 offset:8
	;; [unrolled: 1-line block ×5, first 2 shown]
	v_add_co_u32_e32 v46, vcc, v42, v115
	v_addc_co_u32_e32 v47, vcc, 0, v43, vcc
	global_load_ushort v203, v[42:43], off
	global_load_dword v204, v[46:47], off offset:2
	s_waitcnt vmcnt(17)
	v_mul_u32_u24_e32 v205, 0x10001, v209
	s_waitcnt vmcnt(16)
	v_pk_lshrrev_b16 v42, 8, v210 op_sel:[1,0] op_sel_hi:[0,0]
	v_lshrrev_b32_e32 v43, 16, v42
	v_cvt_f16_i16_sdwa v42, sext(v42) dst_sel:DWORD dst_unused:UNUSED_PAD src0_sel:BYTE_0
	v_cvt_f16_i16_sdwa v43, sext(v43) dst_sel:DWORD dst_unused:UNUSED_PAD src0_sel:BYTE_0
	v_pack_b32_f16 v42, v42, v43
	v_pk_mul_f16 v206, v42, v205
	v_pk_lshrrev_b16 v42, 8, v210 op_sel:[1,1] op_sel_hi:[0,1]
	v_lshrrev_b32_e32 v43, 16, v42
	v_cvt_f16_i16_sdwa v207, sext(v42) dst_sel:DWORD dst_unused:UNUSED_PAD src0_sel:BYTE_0
	v_add_co_u32_e32 v42, vcc, v198, v190
	v_cvt_f16_i16_sdwa v208, sext(v43) dst_sel:DWORD dst_unused:UNUSED_PAD src0_sel:BYTE_0
	v_addc_co_u32_e32 v43, vcc, v199, v188, vcc
	v_add_co_u32_e32 v46, vcc, v42, v117
	v_addc_co_u32_e32 v47, vcc, 0, v43, vcc
	global_load_ushort v198, v[42:43], off
	global_load_dword v199, v[46:47], off offset:2
	s_waitcnt vmcnt(12)
	v_pk_lshrrev_b16 v43, 8, v202 op_sel:[1,0] op_sel_hi:[0,0]
	v_pack_b32_f16 v42, v207, v208
	v_lshrrev_b32_e32 v46, 16, v43
	v_pk_mul_f16 v42, v42, v205
	v_cvt_f16_i16_sdwa v43, sext(v43) dst_sel:DWORD dst_unused:UNUSED_PAD src0_sel:BYTE_0
	v_cvt_f16_i16_sdwa v46, sext(v46) dst_sel:DWORD dst_unused:UNUSED_PAD src0_sel:BYTE_0
	v_pk_fma_f16 v196, v42, v44, v196
	v_pk_fma_f16 v193, v42, v48, v193
	v_mul_u32_u24_e32 v42, 0x10001, v200
	v_pack_b32_f16 v43, v43, v46
	v_pk_mul_f16 v200, v43, v42
	v_pk_lshrrev_b16 v43, 8, v202 op_sel:[1,1] op_sel_hi:[0,1]
	v_lshrrev_b32_e32 v46, 16, v43
	v_cvt_f16_i16_sdwa v43, sext(v43) dst_sel:DWORD dst_unused:UNUSED_PAD src0_sel:BYTE_0
	v_cvt_f16_i16_sdwa v46, sext(v46) dst_sel:DWORD dst_unused:UNUSED_PAD src0_sel:BYTE_0
	v_add_co_u32_e32 v205, vcc, s6, v162
	v_pk_fma_f16 v201, v206, v44, v201
	v_pk_fma_f16 v194, v206, v48, v194
	v_pack_b32_f16 v43, v43, v46
	v_addc_co_u32_e32 v206, vcc, v186, v163, vcc
	v_pk_mul_f16 v202, v43, v42
	v_add_co_u32_e32 v42, vcc, v205, v189
	v_addc_co_u32_e32 v43, vcc, v206, v187, vcc
	buffer_store_dword v201, off, s[0:3], 0
	buffer_store_dword v194, off, s[0:3], 0 offset:16
	buffer_store_dword v196, off, s[0:3], 0 offset:4
	;; [unrolled: 1-line block ×3, first 2 shown]
	v_add_co_u32_e32 v46, vcc, v42, v115
	v_addc_co_u32_e32 v47, vcc, 0, v43, vcc
	global_load_ushort v207, v[42:43], off
	global_load_dword v208, v[46:47], off offset:2
	v_add_co_u32_e32 v42, vcc, v205, v190
	v_pk_fma_f16 v195, v200, v44, v195
	v_pk_fma_f16 v191, v200, v48, v191
	;; [unrolled: 1-line block ×4, first 2 shown]
	v_addc_co_u32_e32 v43, vcc, v206, v188, vcc
	buffer_store_dword v195, off, s[0:3], 0 offset:8
	buffer_store_dword v191, off, s[0:3], 0 offset:24
	;; [unrolled: 1-line block ×4, first 2 shown]
	v_add_co_u32_e32 v46, vcc, v42, v117
	v_addc_co_u32_e32 v47, vcc, 0, v43, vcc
	global_load_ushort v200, v[42:43], off
	s_nop 0
	global_load_dword v46, v[46:47], off offset:2
	v_mul_u32_u24_sdwa v192, v45, s57 dst_sel:DWORD dst_unused:UNUSED_PAD src0_sel:WORD_0 src1_sel:DWORD
	v_mul_u32_u24_sdwa v197, v49, s57 dst_sel:DWORD dst_unused:UNUSED_PAD src0_sel:WORD_0 src1_sel:DWORD
	v_mul_u32_u24_sdwa v49, v49, s57 dst_sel:DWORD dst_unused:UNUSED_PAD src0_sel:WORD_1 src1_sel:DWORD
	s_waitcnt vmcnt(15)
	v_mul_u32_u24_e32 v42, 0x10001, v203
	s_waitcnt vmcnt(14)
	v_pk_lshrrev_b16 v43, 8, v204 op_sel:[1,0] op_sel_hi:[0,0]
	v_lshrrev_b32_e32 v47, 16, v43
	v_cvt_f16_i16_sdwa v43, sext(v43) dst_sel:DWORD dst_unused:UNUSED_PAD src0_sel:BYTE_0
	v_cvt_f16_i16_sdwa v47, sext(v47) dst_sel:DWORD dst_unused:UNUSED_PAD src0_sel:BYTE_0
	v_pack_b32_f16 v43, v43, v47
	v_pk_lshrrev_b16 v47, 8, v204 op_sel:[1,1] op_sel_hi:[0,1]
	v_lshrrev_b32_e32 v202, 16, v47
	v_cvt_f16_i16_sdwa v47, sext(v47) dst_sel:DWORD dst_unused:UNUSED_PAD src0_sel:BYTE_0
	v_cvt_f16_i16_sdwa v202, sext(v202) dst_sel:DWORD dst_unused:UNUSED_PAD src0_sel:BYTE_0
	v_pk_mul_f16 v43, v43, v42
	v_pack_b32_f16 v47, v47, v202
	v_pk_mul_f16 v42, v47, v42
	v_pk_fma_f16 v47, v43, v192, v201
	v_pk_fma_f16 v194, v43, v197, v194
	;; [unrolled: 1-line block ×4, first 2 shown]
	buffer_store_dword v47, off, s[0:3], 0
	buffer_store_dword v194, off, s[0:3], 0 offset:16
	buffer_store_dword v196, off, s[0:3], 0 offset:4
	;; [unrolled: 1-line block ×3, first 2 shown]
	s_waitcnt vmcnt(17)
	v_mul_u32_u24_e32 v42, 0x10001, v198
	s_waitcnt vmcnt(16)
	v_pk_lshrrev_b16 v43, 8, v199 op_sel:[1,0] op_sel_hi:[0,0]
	v_lshrrev_b32_e32 v198, 16, v43
	v_cvt_f16_i16_sdwa v43, sext(v43) dst_sel:DWORD dst_unused:UNUSED_PAD src0_sel:BYTE_0
	v_cvt_f16_i16_sdwa v198, sext(v198) dst_sel:DWORD dst_unused:UNUSED_PAD src0_sel:BYTE_0
	v_pack_b32_f16 v43, v43, v198
	v_pk_lshrrev_b16 v198, 8, v199 op_sel:[1,1] op_sel_hi:[0,1]
	v_lshrrev_b32_e32 v199, 16, v198
	v_cvt_f16_i16_sdwa v198, sext(v198) dst_sel:DWORD dst_unused:UNUSED_PAD src0_sel:BYTE_0
	v_cvt_f16_i16_sdwa v199, sext(v199) dst_sel:DWORD dst_unused:UNUSED_PAD src0_sel:BYTE_0
	v_pack_b32_f16 v198, v198, v199
	v_pk_mul_f16 v43, v43, v42
	v_pk_mul_f16 v42, v198, v42
	v_add_co_u32_e32 v198, vcc, s6, v164
	v_addc_co_u32_e32 v199, vcc, v186, v165, vcc
	v_pk_fma_f16 v195, v43, v192, v195
	v_pk_fma_f16 v192, v42, v192, v44
	;; [unrolled: 1-line block ×3, first 2 shown]
	v_add_co_u32_e32 v42, vcc, v198, v189
	v_pk_fma_f16 v191, v43, v197, v191
	v_addc_co_u32_e32 v43, vcc, v199, v187, vcc
	buffer_store_dword v195, off, s[0:3], 0 offset:8
	buffer_store_dword v191, off, s[0:3], 0 offset:24
	;; [unrolled: 1-line block ×4, first 2 shown]
	v_add_co_u32_e32 v44, vcc, v42, v115
	v_mul_u32_u24_sdwa v197, v45, s57 dst_sel:DWORD dst_unused:UNUSED_PAD src0_sel:WORD_1 src1_sel:DWORD
	v_addc_co_u32_e32 v45, vcc, 0, v43, vcc
	global_load_ushort v201, v[42:43], off
	global_load_dword v202, v[44:45], off offset:2
	s_waitcnt vmcnt(17)
	v_mul_u32_u24_e32 v203, 0x10001, v207
	s_waitcnt vmcnt(16)
	v_pk_lshrrev_b16 v42, 8, v208 op_sel:[1,0] op_sel_hi:[0,0]
	v_lshrrev_b32_e32 v43, 16, v42
	v_cvt_f16_i16_sdwa v42, sext(v42) dst_sel:DWORD dst_unused:UNUSED_PAD src0_sel:BYTE_0
	v_cvt_f16_i16_sdwa v43, sext(v43) dst_sel:DWORD dst_unused:UNUSED_PAD src0_sel:BYTE_0
	v_pack_b32_f16 v42, v42, v43
	v_pk_mul_f16 v204, v42, v203
	v_pk_lshrrev_b16 v42, 8, v208 op_sel:[1,1] op_sel_hi:[0,1]
	v_lshrrev_b32_e32 v43, 16, v42
	v_cvt_f16_i16_sdwa v205, sext(v42) dst_sel:DWORD dst_unused:UNUSED_PAD src0_sel:BYTE_0
	v_add_co_u32_e32 v42, vcc, v198, v190
	v_cvt_f16_i16_sdwa v206, sext(v43) dst_sel:DWORD dst_unused:UNUSED_PAD src0_sel:BYTE_0
	v_addc_co_u32_e32 v43, vcc, v199, v188, vcc
	v_add_co_u32_e32 v44, vcc, v42, v117
	v_addc_co_u32_e32 v45, vcc, 0, v43, vcc
	global_load_ushort v198, v[42:43], off
	global_load_dword v199, v[44:45], off offset:2
	s_waitcnt vmcnt(12)
	v_pk_lshrrev_b16 v43, 8, v46 op_sel:[1,0] op_sel_hi:[0,0]
	v_pack_b32_f16 v42, v205, v206
	v_lshrrev_b32_e32 v44, 16, v43
	v_pk_mul_f16 v42, v42, v203
	v_cvt_f16_i16_sdwa v43, sext(v43) dst_sel:DWORD dst_unused:UNUSED_PAD src0_sel:BYTE_0
	v_cvt_f16_i16_sdwa v44, sext(v44) dst_sel:DWORD dst_unused:UNUSED_PAD src0_sel:BYTE_0
	v_pk_fma_f16 v196, v42, v197, v196
	v_pk_fma_f16 v193, v42, v49, v193
	v_mul_u32_u24_e32 v42, 0x10001, v200
	v_pack_b32_f16 v43, v43, v44
	v_pk_mul_f16 v200, v43, v42
	v_pk_lshrrev_b16 v43, 8, v46 op_sel:[1,1] op_sel_hi:[0,1]
	v_lshrrev_b32_e32 v44, 16, v43
	v_cvt_f16_i16_sdwa v43, sext(v43) dst_sel:DWORD dst_unused:UNUSED_PAD src0_sel:BYTE_0
	v_cvt_f16_i16_sdwa v44, sext(v44) dst_sel:DWORD dst_unused:UNUSED_PAD src0_sel:BYTE_0
	v_add_co_u32_e32 v203, vcc, s6, v166
	v_pk_fma_f16 v47, v204, v197, v47
	v_pk_fma_f16 v194, v204, v49, v194
	v_pack_b32_f16 v43, v43, v44
	v_addc_co_u32_e32 v204, vcc, v186, v167, vcc
	v_pk_mul_f16 v46, v43, v42
	v_add_co_u32_e32 v42, vcc, v203, v189
	v_addc_co_u32_e32 v43, vcc, v204, v187, vcc
	buffer_store_dword v47, off, s[0:3], 0
	buffer_store_dword v194, off, s[0:3], 0 offset:16
	buffer_store_dword v196, off, s[0:3], 0 offset:4
	;; [unrolled: 1-line block ×3, first 2 shown]
	v_add_co_u32_e32 v44, vcc, v42, v115
	v_addc_co_u32_e32 v45, vcc, 0, v43, vcc
	global_load_ushort v205, v[42:43], off
	global_load_dword v206, v[44:45], off offset:2
	v_add_co_u32_e32 v42, vcc, v203, v190
	v_pk_fma_f16 v195, v200, v197, v195
	v_pk_fma_f16 v191, v200, v49, v191
	;; [unrolled: 1-line block ×4, first 2 shown]
	v_addc_co_u32_e32 v43, vcc, v204, v188, vcc
	buffer_store_dword v195, off, s[0:3], 0 offset:8
	buffer_store_dword v191, off, s[0:3], 0 offset:24
	;; [unrolled: 1-line block ×4, first 2 shown]
	v_add_co_u32_e32 v44, vcc, v42, v117
	v_addc_co_u32_e32 v45, vcc, 0, v43, vcc
	global_load_ushort v197, v[42:43], off
	global_load_dword v200, v[44:45], off offset:2
	v_mul_u32_u24_sdwa v48, v34, s57 dst_sel:DWORD dst_unused:UNUSED_PAD src0_sel:WORD_0 src1_sel:DWORD
	s_waitcnt lgkmcnt(0)
	v_mul_u32_u24_sdwa v49, v38, s57 dst_sel:DWORD dst_unused:UNUSED_PAD src0_sel:WORD_0 src1_sel:DWORD
	v_mul_u32_u24_sdwa v34, v34, s57 dst_sel:DWORD dst_unused:UNUSED_PAD src0_sel:WORD_1 src1_sel:DWORD
	v_mul_u32_u24_sdwa v38, v38, s57 dst_sel:DWORD dst_unused:UNUSED_PAD src0_sel:WORD_1 src1_sel:DWORD
	s_waitcnt vmcnt(15)
	v_mul_u32_u24_e32 v42, 0x10001, v201
	s_waitcnt vmcnt(14)
	v_pk_lshrrev_b16 v43, 8, v202 op_sel:[1,0] op_sel_hi:[0,0]
	v_lshrrev_b32_e32 v44, 16, v43
	v_cvt_f16_i16_sdwa v43, sext(v43) dst_sel:DWORD dst_unused:UNUSED_PAD src0_sel:BYTE_0
	v_cvt_f16_i16_sdwa v44, sext(v44) dst_sel:DWORD dst_unused:UNUSED_PAD src0_sel:BYTE_0
	v_pack_b32_f16 v43, v43, v44
	v_pk_lshrrev_b16 v44, 8, v202 op_sel:[1,1] op_sel_hi:[0,1]
	v_lshrrev_b32_e32 v45, 16, v44
	v_pk_mul_f16 v43, v43, v42
	v_cvt_f16_i16_sdwa v44, sext(v44) dst_sel:DWORD dst_unused:UNUSED_PAD src0_sel:BYTE_0
	v_cvt_f16_i16_sdwa v45, sext(v45) dst_sel:DWORD dst_unused:UNUSED_PAD src0_sel:BYTE_0
	v_pack_b32_f16 v44, v44, v45
	v_pk_fma_f16 v47, v43, v48, v47
	v_pk_fma_f16 v194, v43, v49, v194
	v_pk_mul_f16 v42, v44, v42
	v_pk_fma_f16 v196, v42, v48, v196
	v_pk_fma_f16 v193, v42, v49, v193
	buffer_store_dword v47, off, s[0:3], 0
	buffer_store_dword v194, off, s[0:3], 0 offset:16
	buffer_store_dword v196, off, s[0:3], 0 offset:4
	;; [unrolled: 1-line block ×3, first 2 shown]
	s_waitcnt vmcnt(17)
	v_mul_u32_u24_e32 v42, 0x10001, v198
	s_waitcnt vmcnt(16)
	v_pk_lshrrev_b16 v43, 8, v199 op_sel:[1,0] op_sel_hi:[0,0]
	v_lshrrev_b32_e32 v44, 16, v43
	v_cvt_f16_i16_sdwa v43, sext(v43) dst_sel:DWORD dst_unused:UNUSED_PAD src0_sel:BYTE_0
	v_cvt_f16_i16_sdwa v44, sext(v44) dst_sel:DWORD dst_unused:UNUSED_PAD src0_sel:BYTE_0
	v_pack_b32_f16 v43, v43, v44
	v_pk_lshrrev_b16 v44, 8, v199 op_sel:[1,1] op_sel_hi:[0,1]
	v_lshrrev_b32_e32 v45, 16, v44
	v_cvt_f16_i16_sdwa v44, sext(v44) dst_sel:DWORD dst_unused:UNUSED_PAD src0_sel:BYTE_0
	v_cvt_f16_i16_sdwa v45, sext(v45) dst_sel:DWORD dst_unused:UNUSED_PAD src0_sel:BYTE_0
	v_pack_b32_f16 v44, v44, v45
	v_pk_mul_f16 v43, v43, v42
	v_pk_mul_f16 v42, v44, v42
	v_pk_fma_f16 v191, v43, v49, v191
	v_pk_fma_f16 v46, v42, v49, v46
	v_add_co_u32_e32 v49, vcc, s6, v168
	v_pk_fma_f16 v195, v43, v48, v195
	v_pk_fma_f16 v48, v42, v48, v192
	v_addc_co_u32_e32 v192, vcc, v186, v169, vcc
	v_add_co_u32_e32 v42, vcc, v49, v189
	v_addc_co_u32_e32 v43, vcc, v192, v187, vcc
	buffer_store_dword v195, off, s[0:3], 0 offset:8
	buffer_store_dword v191, off, s[0:3], 0 offset:24
	;; [unrolled: 1-line block ×4, first 2 shown]
	v_add_co_u32_e32 v44, vcc, v42, v115
	v_addc_co_u32_e32 v45, vcc, 0, v43, vcc
	global_load_ushort v198, v[42:43], off
	global_load_dword v199, v[44:45], off offset:2
	s_waitcnt vmcnt(17)
	v_mul_u32_u24_e32 v201, 0x10001, v205
	s_waitcnt vmcnt(16)
	v_pk_lshrrev_b16 v42, 8, v206 op_sel:[1,0] op_sel_hi:[0,0]
	v_lshrrev_b32_e32 v43, 16, v42
	v_cvt_f16_i16_sdwa v42, sext(v42) dst_sel:DWORD dst_unused:UNUSED_PAD src0_sel:BYTE_0
	v_cvt_f16_i16_sdwa v43, sext(v43) dst_sel:DWORD dst_unused:UNUSED_PAD src0_sel:BYTE_0
	v_pack_b32_f16 v42, v42, v43
	v_pk_mul_f16 v202, v42, v201
	v_pk_lshrrev_b16 v42, 8, v206 op_sel:[1,1] op_sel_hi:[0,1]
	v_lshrrev_b32_e32 v43, 16, v42
	v_cvt_f16_i16_sdwa v203, sext(v42) dst_sel:DWORD dst_unused:UNUSED_PAD src0_sel:BYTE_0
	v_add_co_u32_e32 v42, vcc, v49, v190
	v_cvt_f16_i16_sdwa v204, sext(v43) dst_sel:DWORD dst_unused:UNUSED_PAD src0_sel:BYTE_0
	v_addc_co_u32_e32 v43, vcc, v192, v188, vcc
	v_add_co_u32_e32 v44, vcc, v42, v117
	v_addc_co_u32_e32 v45, vcc, 0, v43, vcc
	global_load_ushort v49, v[42:43], off
	global_load_dword v192, v[44:45], off offset:2
	s_waitcnt vmcnt(12)
	v_pk_lshrrev_b16 v43, 8, v200 op_sel:[1,0] op_sel_hi:[0,0]
	v_pack_b32_f16 v42, v203, v204
	v_lshrrev_b32_e32 v44, 16, v43
	v_pk_mul_f16 v42, v42, v201
	v_cvt_f16_i16_sdwa v43, sext(v43) dst_sel:DWORD dst_unused:UNUSED_PAD src0_sel:BYTE_0
	v_cvt_f16_i16_sdwa v44, sext(v44) dst_sel:DWORD dst_unused:UNUSED_PAD src0_sel:BYTE_0
	v_pk_fma_f16 v196, v42, v34, v196
	v_pk_fma_f16 v193, v42, v38, v193
	v_mul_u32_u24_e32 v42, 0x10001, v197
	v_pack_b32_f16 v43, v43, v44
	v_pk_mul_f16 v197, v43, v42
	v_pk_lshrrev_b16 v43, 8, v200 op_sel:[1,1] op_sel_hi:[0,1]
	v_lshrrev_b32_e32 v44, 16, v43
	v_cvt_f16_i16_sdwa v43, sext(v43) dst_sel:DWORD dst_unused:UNUSED_PAD src0_sel:BYTE_0
	v_cvt_f16_i16_sdwa v44, sext(v44) dst_sel:DWORD dst_unused:UNUSED_PAD src0_sel:BYTE_0
	v_add_co_u32_e32 v201, vcc, s6, v170
	v_pk_fma_f16 v47, v202, v34, v47
	v_pk_fma_f16 v194, v202, v38, v194
	v_pack_b32_f16 v43, v43, v44
	v_addc_co_u32_e32 v202, vcc, v186, v171, vcc
	v_pk_mul_f16 v200, v43, v42
	v_add_co_u32_e32 v42, vcc, v201, v189
	v_addc_co_u32_e32 v43, vcc, v202, v187, vcc
	buffer_store_dword v47, off, s[0:3], 0
	buffer_store_dword v194, off, s[0:3], 0 offset:16
	buffer_store_dword v196, off, s[0:3], 0 offset:4
	buffer_store_dword v193, off, s[0:3], 0 offset:20
	v_add_co_u32_e32 v44, vcc, v42, v115
	v_addc_co_u32_e32 v45, vcc, 0, v43, vcc
	global_load_ushort v203, v[42:43], off
	global_load_dword v204, v[44:45], off offset:2
	v_add_co_u32_e32 v42, vcc, v201, v190
	v_pk_fma_f16 v195, v197, v34, v195
	v_pk_fma_f16 v191, v197, v38, v191
	;; [unrolled: 1-line block ×4, first 2 shown]
	v_addc_co_u32_e32 v43, vcc, v202, v188, vcc
	buffer_store_dword v195, off, s[0:3], 0 offset:8
	buffer_store_dword v191, off, s[0:3], 0 offset:24
	;; [unrolled: 1-line block ×4, first 2 shown]
	v_add_co_u32_e32 v44, vcc, v42, v117
	v_addc_co_u32_e32 v45, vcc, 0, v43, vcc
	global_load_ushort v42, v[42:43], off
	s_nop 0
	global_load_dword v43, v[44:45], off offset:2
	v_mul_u32_u24_sdwa v46, v35, s57 dst_sel:DWORD dst_unused:UNUSED_PAD src0_sel:WORD_0 src1_sel:DWORD
	v_mul_u32_u24_sdwa v48, v39, s57 dst_sel:DWORD dst_unused:UNUSED_PAD src0_sel:WORD_0 src1_sel:DWORD
	s_waitcnt vmcnt(15)
	v_mul_u32_u24_e32 v44, 0x10001, v198
	s_waitcnt vmcnt(14)
	v_pk_lshrrev_b16 v45, 8, v199 op_sel:[1,0] op_sel_hi:[0,0]
	v_lshrrev_b32_e32 v197, 16, v45
	v_cvt_f16_i16_sdwa v45, sext(v45) dst_sel:DWORD dst_unused:UNUSED_PAD src0_sel:BYTE_0
	v_cvt_f16_i16_sdwa v197, sext(v197) dst_sel:DWORD dst_unused:UNUSED_PAD src0_sel:BYTE_0
	v_pack_b32_f16 v45, v45, v197
	v_pk_lshrrev_b16 v197, 8, v199 op_sel:[1,1] op_sel_hi:[0,1]
	v_lshrrev_b32_e32 v198, 16, v197
	v_cvt_f16_i16_sdwa v197, sext(v197) dst_sel:DWORD dst_unused:UNUSED_PAD src0_sel:BYTE_0
	v_cvt_f16_i16_sdwa v198, sext(v198) dst_sel:DWORD dst_unused:UNUSED_PAD src0_sel:BYTE_0
	v_pack_b32_f16 v197, v197, v198
	v_pk_mul_f16 v45, v45, v44
	v_pk_mul_f16 v44, v197, v44
	v_pk_fma_f16 v47, v45, v46, v47
	v_pk_fma_f16 v45, v45, v48, v194
	;; [unrolled: 1-line block ×4, first 2 shown]
	buffer_store_dword v47, off, s[0:3], 0
	buffer_store_dword v45, off, s[0:3], 0 offset:16
	buffer_store_dword v194, off, s[0:3], 0 offset:4
	;; [unrolled: 1-line block ×3, first 2 shown]
	s_waitcnt vmcnt(17)
	v_mul_u32_u24_e32 v49, 0x10001, v49
	s_waitcnt vmcnt(16)
	v_pk_lshrrev_b16 v193, 8, v192 op_sel:[1,0] op_sel_hi:[0,0]
	v_lshrrev_b32_e32 v196, 16, v193
	v_cvt_f16_i16_sdwa v193, sext(v193) dst_sel:DWORD dst_unused:UNUSED_PAD src0_sel:BYTE_0
	v_cvt_f16_i16_sdwa v196, sext(v196) dst_sel:DWORD dst_unused:UNUSED_PAD src0_sel:BYTE_0
	v_pk_lshrrev_b16 v192, 8, v192 op_sel:[1,1] op_sel_hi:[0,1]
	v_pack_b32_f16 v193, v193, v196
	v_lshrrev_b32_e32 v196, 16, v192
	v_cvt_f16_i16_sdwa v192, sext(v192) dst_sel:DWORD dst_unused:UNUSED_PAD src0_sel:BYTE_0
	v_cvt_f16_i16_sdwa v196, sext(v196) dst_sel:DWORD dst_unused:UNUSED_PAD src0_sel:BYTE_0
	v_pk_mul_f16 v193, v193, v49
	v_pack_b32_f16 v192, v192, v196
	v_pk_mul_f16 v49, v192, v49
	v_pk_fma_f16 v192, v193, v46, v195
	v_add_co_u32_e32 v195, vcc, s6, v172
	v_addc_co_u32_e32 v196, vcc, v186, v173, vcc
	v_pk_fma_f16 v46, v49, v46, v34
	v_add_co_u32_e32 v34, vcc, v195, v189
	v_pk_fma_f16 v191, v193, v48, v191
	v_pk_fma_f16 v48, v49, v48, v38
	v_mul_u32_u24_sdwa v49, v35, s57 dst_sel:DWORD dst_unused:UNUSED_PAD src0_sel:WORD_1 src1_sel:DWORD
	v_addc_co_u32_e32 v35, vcc, v196, v187, vcc
	buffer_store_dword v192, off, s[0:3], 0 offset:8
	buffer_store_dword v191, off, s[0:3], 0 offset:24
	;; [unrolled: 1-line block ×4, first 2 shown]
	v_add_co_u32_e32 v38, vcc, v34, v115
	v_mul_u32_u24_sdwa v193, v39, s57 dst_sel:DWORD dst_unused:UNUSED_PAD src0_sel:WORD_1 src1_sel:DWORD
	v_addc_co_u32_e32 v39, vcc, 0, v35, vcc
	global_load_ushort v197, v[34:35], off
	global_load_dword v198, v[38:39], off offset:2
	s_waitcnt vmcnt(17)
	v_mul_u32_u24_e32 v199, 0x10001, v203
	s_waitcnt vmcnt(16)
	v_pk_lshrrev_b16 v34, 8, v204 op_sel:[1,0] op_sel_hi:[0,0]
	v_lshrrev_b32_e32 v35, 16, v34
	v_cvt_f16_i16_sdwa v34, sext(v34) dst_sel:DWORD dst_unused:UNUSED_PAD src0_sel:BYTE_0
	v_cvt_f16_i16_sdwa v35, sext(v35) dst_sel:DWORD dst_unused:UNUSED_PAD src0_sel:BYTE_0
	v_pack_b32_f16 v34, v34, v35
	v_pk_mul_f16 v200, v34, v199
	v_pk_lshrrev_b16 v34, 8, v204 op_sel:[1,1] op_sel_hi:[0,1]
	v_lshrrev_b32_e32 v35, 16, v34
	v_cvt_f16_i16_sdwa v201, sext(v34) dst_sel:DWORD dst_unused:UNUSED_PAD src0_sel:BYTE_0
	v_add_co_u32_e32 v34, vcc, v195, v190
	v_cvt_f16_i16_sdwa v202, sext(v35) dst_sel:DWORD dst_unused:UNUSED_PAD src0_sel:BYTE_0
	v_addc_co_u32_e32 v35, vcc, v196, v188, vcc
	v_add_co_u32_e32 v38, vcc, v34, v117
	v_addc_co_u32_e32 v39, vcc, 0, v35, vcc
	global_load_ushort v195, v[34:35], off
	global_load_dword v196, v[38:39], off offset:2
	s_waitcnt vmcnt(12)
	v_pk_lshrrev_b16 v35, 8, v43 op_sel:[1,0] op_sel_hi:[0,0]
	v_pack_b32_f16 v34, v201, v202
	v_lshrrev_b32_e32 v38, 16, v35
	v_pk_mul_f16 v34, v34, v199
	v_cvt_f16_i16_sdwa v35, sext(v35) dst_sel:DWORD dst_unused:UNUSED_PAD src0_sel:BYTE_0
	v_cvt_f16_i16_sdwa v38, sext(v38) dst_sel:DWORD dst_unused:UNUSED_PAD src0_sel:BYTE_0
	v_pk_fma_f16 v194, v34, v49, v194
	v_pk_fma_f16 v44, v34, v193, v44
	v_mul_u32_u24_e32 v34, 0x10001, v42
	v_pack_b32_f16 v35, v35, v38
	v_pk_mul_f16 v42, v35, v34
	v_pk_lshrrev_b16 v35, 8, v43 op_sel:[1,1] op_sel_hi:[0,1]
	v_lshrrev_b32_e32 v38, 16, v35
	v_cvt_f16_i16_sdwa v35, sext(v35) dst_sel:DWORD dst_unused:UNUSED_PAD src0_sel:BYTE_0
	v_cvt_f16_i16_sdwa v38, sext(v38) dst_sel:DWORD dst_unused:UNUSED_PAD src0_sel:BYTE_0
	v_add_co_u32_e32 v199, vcc, s6, v174
	v_pk_fma_f16 v47, v200, v49, v47
	v_pk_fma_f16 v45, v200, v193, v45
	v_pack_b32_f16 v35, v35, v38
	v_addc_co_u32_e32 v200, vcc, v186, v175, vcc
	v_pk_mul_f16 v43, v35, v34
	v_add_co_u32_e32 v34, vcc, v199, v189
	v_addc_co_u32_e32 v35, vcc, v200, v187, vcc
	buffer_store_dword v47, off, s[0:3], 0
	buffer_store_dword v45, off, s[0:3], 0 offset:16
	buffer_store_dword v194, off, s[0:3], 0 offset:4
	;; [unrolled: 1-line block ×3, first 2 shown]
	v_add_co_u32_e32 v38, vcc, v34, v115
	v_addc_co_u32_e32 v39, vcc, 0, v35, vcc
	global_load_ushort v201, v[34:35], off
	global_load_dword v202, v[38:39], off offset:2
	v_add_co_u32_e32 v34, vcc, v199, v190
	v_pk_fma_f16 v192, v42, v49, v192
	v_pk_fma_f16 v42, v42, v193, v191
	;; [unrolled: 1-line block ×4, first 2 shown]
	v_addc_co_u32_e32 v35, vcc, v200, v188, vcc
	buffer_store_dword v192, off, s[0:3], 0 offset:8
	buffer_store_dword v42, off, s[0:3], 0 offset:24
	;; [unrolled: 1-line block ×4, first 2 shown]
	v_add_co_u32_e32 v38, vcc, v34, v117
	v_addc_co_u32_e32 v39, vcc, 0, v35, vcc
	global_load_ushort v191, v[34:35], off
	global_load_dword v193, v[38:39], off offset:2
	v_mul_u32_u24_sdwa v48, v36, s57 dst_sel:DWORD dst_unused:UNUSED_PAD src0_sel:WORD_0 src1_sel:DWORD
	v_mul_u32_u24_sdwa v49, v40, s57 dst_sel:DWORD dst_unused:UNUSED_PAD src0_sel:WORD_0 src1_sel:DWORD
	v_mul_u32_u24_sdwa v36, v36, s57 dst_sel:DWORD dst_unused:UNUSED_PAD src0_sel:WORD_1 src1_sel:DWORD
	v_mul_u32_u24_sdwa v40, v40, s57 dst_sel:DWORD dst_unused:UNUSED_PAD src0_sel:WORD_1 src1_sel:DWORD
	s_waitcnt vmcnt(15)
	v_mul_u32_u24_e32 v34, 0x10001, v197
	s_waitcnt vmcnt(14)
	v_pk_lshrrev_b16 v35, 8, v198 op_sel:[1,0] op_sel_hi:[0,0]
	v_lshrrev_b32_e32 v38, 16, v35
	v_cvt_f16_i16_sdwa v35, sext(v35) dst_sel:DWORD dst_unused:UNUSED_PAD src0_sel:BYTE_0
	v_cvt_f16_i16_sdwa v38, sext(v38) dst_sel:DWORD dst_unused:UNUSED_PAD src0_sel:BYTE_0
	v_pack_b32_f16 v35, v35, v38
	v_pk_lshrrev_b16 v38, 8, v198 op_sel:[1,1] op_sel_hi:[0,1]
	v_lshrrev_b32_e32 v39, 16, v38
	v_pk_mul_f16 v35, v35, v34
	v_cvt_f16_i16_sdwa v38, sext(v38) dst_sel:DWORD dst_unused:UNUSED_PAD src0_sel:BYTE_0
	v_cvt_f16_i16_sdwa v39, sext(v39) dst_sel:DWORD dst_unused:UNUSED_PAD src0_sel:BYTE_0
	v_pack_b32_f16 v38, v38, v39
	v_pk_fma_f16 v47, v35, v48, v47
	v_pk_fma_f16 v45, v35, v49, v45
	v_pk_mul_f16 v34, v38, v34
	v_pk_fma_f16 v194, v34, v48, v194
	v_pk_fma_f16 v44, v34, v49, v44
	buffer_store_dword v47, off, s[0:3], 0
	buffer_store_dword v45, off, s[0:3], 0 offset:16
	buffer_store_dword v194, off, s[0:3], 0 offset:4
	s_waitcnt vmcnt(16)
	v_mul_u32_u24_e32 v34, 0x10001, v195
	s_waitcnt vmcnt(15)
	v_pk_lshrrev_b16 v35, 8, v196 op_sel:[1,0] op_sel_hi:[0,0]
	v_lshrrev_b32_e32 v38, 16, v35
	v_cvt_f16_i16_sdwa v35, sext(v35) dst_sel:DWORD dst_unused:UNUSED_PAD src0_sel:BYTE_0
	v_cvt_f16_i16_sdwa v38, sext(v38) dst_sel:DWORD dst_unused:UNUSED_PAD src0_sel:BYTE_0
	v_pack_b32_f16 v35, v35, v38
	v_pk_lshrrev_b16 v38, 8, v196 op_sel:[1,1] op_sel_hi:[0,1]
	v_lshrrev_b32_e32 v39, 16, v38
	v_cvt_f16_i16_sdwa v38, sext(v38) dst_sel:DWORD dst_unused:UNUSED_PAD src0_sel:BYTE_0
	v_cvt_f16_i16_sdwa v39, sext(v39) dst_sel:DWORD dst_unused:UNUSED_PAD src0_sel:BYTE_0
	v_pack_b32_f16 v38, v38, v39
	v_pk_mul_f16 v35, v35, v34
	v_pk_mul_f16 v34, v38, v34
	v_pk_fma_f16 v192, v35, v48, v192
	v_pk_fma_f16 v46, v34, v48, v46
	v_add_co_u32_e32 v48, vcc, s6, v176
	v_pk_fma_f16 v42, v35, v49, v42
	v_pk_fma_f16 v43, v34, v49, v43
	v_addc_co_u32_e32 v49, vcc, v186, v177, vcc
	v_add_co_u32_e32 v34, vcc, v48, v189
	v_addc_co_u32_e32 v35, vcc, v49, v187, vcc
	buffer_store_dword v44, off, s[0:3], 0 offset:20
	buffer_store_dword v192, off, s[0:3], 0 offset:8
	;; [unrolled: 1-line block ×5, first 2 shown]
	v_add_co_u32_e32 v38, vcc, v34, v115
	v_addc_co_u32_e32 v39, vcc, 0, v35, vcc
	global_load_ushort v195, v[34:35], off
	global_load_dword v196, v[38:39], off offset:2
	s_waitcnt vmcnt(17)
	v_mul_u32_u24_e32 v197, 0x10001, v201
	s_waitcnt vmcnt(16)
	v_pk_lshrrev_b16 v34, 8, v202 op_sel:[1,0] op_sel_hi:[0,0]
	v_lshrrev_b32_e32 v35, 16, v34
	v_cvt_f16_i16_sdwa v34, sext(v34) dst_sel:DWORD dst_unused:UNUSED_PAD src0_sel:BYTE_0
	v_cvt_f16_i16_sdwa v35, sext(v35) dst_sel:DWORD dst_unused:UNUSED_PAD src0_sel:BYTE_0
	v_pack_b32_f16 v34, v34, v35
	v_pk_mul_f16 v198, v34, v197
	v_pk_lshrrev_b16 v34, 8, v202 op_sel:[1,1] op_sel_hi:[0,1]
	v_lshrrev_b32_e32 v35, 16, v34
	v_cvt_f16_i16_sdwa v199, sext(v34) dst_sel:DWORD dst_unused:UNUSED_PAD src0_sel:BYTE_0
	v_add_co_u32_e32 v34, vcc, v48, v190
	v_cvt_f16_i16_sdwa v200, sext(v35) dst_sel:DWORD dst_unused:UNUSED_PAD src0_sel:BYTE_0
	v_addc_co_u32_e32 v35, vcc, v49, v188, vcc
	v_add_co_u32_e32 v38, vcc, v34, v117
	v_addc_co_u32_e32 v39, vcc, 0, v35, vcc
	global_load_ushort v48, v[34:35], off
	global_load_dword v49, v[38:39], off offset:2
	v_pack_b32_f16 v34, v199, v200
	v_pk_mul_f16 v34, v34, v197
	v_add_co_u32_e32 v197, vcc, s6, v178
	v_addc_co_u32_e32 v186, vcc, v186, v179, vcc
	v_pk_fma_f16 v194, v34, v36, v194
	v_pk_fma_f16 v44, v34, v40, v44
	v_add_co_u32_e32 v34, vcc, v197, v189
	v_pk_fma_f16 v47, v198, v36, v47
	v_pk_fma_f16 v45, v198, v40, v45
	v_addc_co_u32_e32 v35, vcc, v186, v187, vcc
	buffer_store_dword v47, off, s[0:3], 0
	buffer_store_dword v45, off, s[0:3], 0 offset:16
	buffer_store_dword v194, off, s[0:3], 0 offset:4
	v_add_co_u32_e32 v38, vcc, v34, v115
	v_addc_co_u32_e32 v39, vcc, 0, v35, vcc
	global_load_ushort v187, v[34:35], off
	global_load_dword v189, v[38:39], off offset:2
	s_waitcnt vmcnt(17)
	v_pk_lshrrev_b16 v34, 8, v193 op_sel:[1,0] op_sel_hi:[0,0]
	v_lshrrev_b32_e32 v35, 16, v34
	v_cvt_f16_i16_sdwa v34, sext(v34) dst_sel:DWORD dst_unused:UNUSED_PAD src0_sel:BYTE_0
	v_cvt_f16_i16_sdwa v35, sext(v35) dst_sel:DWORD dst_unused:UNUSED_PAD src0_sel:BYTE_0
	v_mul_u32_u24_e32 v191, 0x10001, v191
	v_pack_b32_f16 v34, v34, v35
	v_pk_mul_f16 v198, v34, v191
	v_pk_lshrrev_b16 v34, 8, v193 op_sel:[1,1] op_sel_hi:[0,1]
	v_lshrrev_b32_e32 v193, 16, v34
	v_cvt_f16_i16_sdwa v199, sext(v34) dst_sel:DWORD dst_unused:UNUSED_PAD src0_sel:BYTE_0
	v_add_co_u32_e32 v34, vcc, v197, v190
	v_addc_co_u32_e32 v35, vcc, v186, v188, vcc
	buffer_store_dword v44, off, s[0:3], 0 offset:20
	v_add_co_u32_e32 v38, vcc, v34, v117
	v_addc_co_u32_e32 v39, vcc, 0, v35, vcc
	global_load_ushort v34, v[34:35], off
	s_nop 0
	global_load_dword v35, v[38:39], off offset:2
	v_cvt_f16_i16_sdwa v38, sext(v193) dst_sel:DWORD dst_unused:UNUSED_PAD src0_sel:BYTE_0
	v_pack_b32_f16 v38, v199, v38
	v_pk_mul_f16 v38, v38, v191
	v_pk_fma_f16 v39, v198, v36, v192
	v_pk_fma_f16 v36, v38, v36, v46
	;; [unrolled: 1-line block ×4, first 2 shown]
	v_mul_u32_u24_sdwa v40, v37, s57 dst_sel:DWORD dst_unused:UNUSED_PAD src0_sel:WORD_0 src1_sel:DWORD
	v_mul_u32_u24_sdwa v43, v41, s57 dst_sel:DWORD dst_unused:UNUSED_PAD src0_sel:WORD_0 src1_sel:DWORD
	buffer_store_dword v42, off, s[0:3], 0 offset:24
	buffer_store_dword v38, off, s[0:3], 0 offset:28
	;; [unrolled: 1-line block ×4, first 2 shown]
	v_mul_u32_u24_sdwa v37, v37, s57 dst_sel:DWORD dst_unused:UNUSED_PAD src0_sel:WORD_1 src1_sel:DWORD
	s_add_u32 s6, s6, s43
	s_waitcnt vmcnt(15)
	v_mul_u32_u24_e32 v46, 0x10001, v195
	s_waitcnt vmcnt(14)
	v_pk_lshrrev_b16 v186, 8, v196 op_sel:[1,0] op_sel_hi:[0,0]
	v_lshrrev_b32_e32 v188, 16, v186
	v_cvt_f16_i16_sdwa v186, sext(v186) dst_sel:DWORD dst_unused:UNUSED_PAD src0_sel:BYTE_0
	v_cvt_f16_i16_sdwa v188, sext(v188) dst_sel:DWORD dst_unused:UNUSED_PAD src0_sel:BYTE_0
	v_pack_b32_f16 v186, v186, v188
	v_pk_lshrrev_b16 v188, 8, v196 op_sel:[1,1] op_sel_hi:[0,1]
	v_lshrrev_b32_e32 v190, 16, v188
	v_cvt_f16_i16_sdwa v188, sext(v188) dst_sel:DWORD dst_unused:UNUSED_PAD src0_sel:BYTE_0
	v_cvt_f16_i16_sdwa v190, sext(v190) dst_sel:DWORD dst_unused:UNUSED_PAD src0_sel:BYTE_0
	v_pack_b32_f16 v188, v188, v190
	v_pk_mul_f16 v186, v186, v46
	v_pk_mul_f16 v46, v188, v46
	v_pk_fma_f16 v47, v186, v40, v47
	v_pk_fma_f16 v45, v186, v43, v45
	;; [unrolled: 1-line block ×4, first 2 shown]
	buffer_store_dword v45, off, s[0:3], 0 offset:16
	buffer_store_dword v44, off, s[0:3], 0 offset:20
	;; [unrolled: 1-line block ×3, first 2 shown]
	s_addc_u32 s29, s29, 0
	s_waitcnt vmcnt(16)
	v_mul_u32_u24_e32 v46, 0x10001, v48
	s_waitcnt vmcnt(15)
	v_pk_lshrrev_b16 v48, 8, v49 op_sel:[1,0] op_sel_hi:[0,0]
	v_lshrrev_b32_e32 v188, 16, v48
	v_cvt_f16_i16_sdwa v48, sext(v48) dst_sel:DWORD dst_unused:UNUSED_PAD src0_sel:BYTE_0
	v_cvt_f16_i16_sdwa v188, sext(v188) dst_sel:DWORD dst_unused:UNUSED_PAD src0_sel:BYTE_0
	v_pk_lshrrev_b16 v49, 8, v49 op_sel:[1,1] op_sel_hi:[0,1]
	v_pack_b32_f16 v48, v48, v188
	v_lshrrev_b32_e32 v188, 16, v49
	v_cvt_f16_i16_sdwa v49, sext(v49) dst_sel:DWORD dst_unused:UNUSED_PAD src0_sel:BYTE_0
	v_cvt_f16_i16_sdwa v188, sext(v188) dst_sel:DWORD dst_unused:UNUSED_PAD src0_sel:BYTE_0
	v_pack_b32_f16 v49, v49, v188
	v_pk_mul_f16 v48, v48, v46
	v_pk_mul_f16 v46, v49, v46
	v_pk_fma_f16 v42, v48, v43, v42
	v_pk_fma_f16 v38, v46, v43, v38
	;; [unrolled: 1-line block ×4, first 2 shown]
	v_mul_u32_u24_sdwa v40, v41, s57 dst_sel:DWORD dst_unused:UNUSED_PAD src0_sel:WORD_1 src1_sel:DWORD
	s_lshl_b64 s[16:17], s[30:31], 1
	s_add_u32 s34, s34, s16
	buffer_store_dword v39, off, s[0:3], 0 offset:8
	s_addc_u32 s35, s35, s17
	s_waitcnt vmcnt(12)
	v_mul_u32_u24_e32 v41, 0x10001, v187
	s_waitcnt vmcnt(11)
	v_pk_lshrrev_b16 v43, 8, v189 op_sel:[1,0] op_sel_hi:[0,0]
	v_lshrrev_b32_e32 v46, 16, v43
	v_cvt_f16_i16_sdwa v43, sext(v43) dst_sel:DWORD dst_unused:UNUSED_PAD src0_sel:BYTE_0
	v_cvt_f16_i16_sdwa v46, sext(v46) dst_sel:DWORD dst_unused:UNUSED_PAD src0_sel:BYTE_0
	v_pack_b32_f16 v43, v43, v46
	v_pk_lshrrev_b16 v46, 8, v189 op_sel:[1,1] op_sel_hi:[0,1]
	v_lshrrev_b32_e32 v48, 16, v46
	v_cvt_f16_i16_sdwa v46, sext(v46) dst_sel:DWORD dst_unused:UNUSED_PAD src0_sel:BYTE_0
	v_cvt_f16_i16_sdwa v48, sext(v48) dst_sel:DWORD dst_unused:UNUSED_PAD src0_sel:BYTE_0
	v_pk_mul_f16 v43, v43, v41
	v_pack_b32_f16 v46, v46, v48
	v_pk_mul_f16 v41, v46, v41
	v_pk_fma_f16 v46, v43, v37, v47
	v_pk_fma_f16 v43, v43, v40, v45
	buffer_store_dword v43, off, s[0:3], 0 offset:16
	v_pk_fma_f16 v43, v41, v37, v186
	v_pk_fma_f16 v41, v41, v40, v44
	buffer_store_dword v41, off, s[0:3], 0 offset:20
	buffer_store_dword v43, off, s[0:3], 0 offset:4
	s_waitcnt vmcnt(12)
	v_mul_u32_u24_e32 v34, 0x10001, v34
	s_waitcnt vmcnt(11)
	v_pk_lshrrev_b16 v41, 8, v35 op_sel:[1,0] op_sel_hi:[0,0]
	v_lshrrev_b32_e32 v43, 16, v41
	v_cvt_f16_i16_sdwa v41, sext(v41) dst_sel:DWORD dst_unused:UNUSED_PAD src0_sel:BYTE_0
	v_cvt_f16_i16_sdwa v43, sext(v43) dst_sel:DWORD dst_unused:UNUSED_PAD src0_sel:BYTE_0
	v_pk_lshrrev_b16 v35, 8, v35 op_sel:[1,1] op_sel_hi:[0,1]
	v_pack_b32_f16 v41, v41, v43
	v_lshrrev_b32_e32 v43, 16, v35
	v_cvt_f16_i16_sdwa v35, sext(v35) dst_sel:DWORD dst_unused:UNUSED_PAD src0_sel:BYTE_0
	v_cvt_f16_i16_sdwa v43, sext(v43) dst_sel:DWORD dst_unused:UNUSED_PAD src0_sel:BYTE_0
	v_pk_mul_f16 v41, v41, v34
	v_pack_b32_f16 v35, v35, v43
	v_pk_mul_f16 v34, v35, v34
	v_pk_fma_f16 v35, v41, v37, v39
	buffer_store_dword v35, off, s[0:3], 0 offset:8
	v_pk_fma_f16 v35, v41, v40, v42
	buffer_store_dword v42, off, s[0:3], 0 offset:24
	buffer_store_dword v35, off, s[0:3], 0 offset:24
	v_pk_fma_f16 v35, v34, v37, v36
	v_pk_fma_f16 v34, v34, v40, v38
	s_cmp_ge_i32 s28, s25
	buffer_store_dword v47, off, s[0:3], 0
	buffer_store_dword v36, off, s[0:3], 0 offset:12
	buffer_store_dword v38, off, s[0:3], 0 offset:28
	buffer_store_dword v46, off, s[0:3], 0
	buffer_store_dword v35, off, s[0:3], 0 offset:12
	buffer_store_dword v34, off, s[0:3], 0 offset:28
	s_cbranch_scc1 .LBB31_72
; %bb.70:                               ;   in Loop: Header=BB31_21 Depth=1
	v_mov_b32_e32 v35, v86
	v_mov_b32_e32 v34, v87
	s_branch .LBB31_21
.LBB31_71:
	v_mov_b32_e32 v86, 0xfeffffff
	v_mov_b32_e32 v93, 0
	;; [unrolled: 1-line block ×4, first 2 shown]
.LBB31_72:
	s_cmp_eq_u64 s[44:45], 0
	s_cselect_b64 s[8:9], -1, 0
	s_cmp_lg_u32 s7, 0
	s_cselect_b64 s[10:11], -1, 0
	s_or_b64 s[8:9], s[10:11], s[8:9]
	s_nor_b64 s[8:9], s[8:9], s[20:21]
	s_and_saveexec_b64 s[12:13], s[8:9]
	s_cbranch_execz .LBB31_74
; %bb.73:
	s_ashr_i32 s25, s24, 31
	s_lshl_b64 s[8:9], s[24:25], 2
	s_add_u32 s8, s44, s8
	s_addc_u32 s9, s45, s9
	v_mov_b32_e32 v2, 0
	global_load_dword v2, v2, s[8:9]
	v_mov_b32_e32 v3, 0
	v_lshl_add_u32 v3, v1, 4, v3
	buffer_load_dword v4, v3, s[0:3], 0 offen
	buffer_load_dword v5, v3, s[0:3], 0 offen offset:4
	buffer_load_dword v6, v3, s[0:3], 0 offen offset:8
	buffer_load_dword v7, v3, s[0:3], 0 offen offset:12
	v_cmp_eq_u32_e32 vcc, 1, v1
	v_cndmask_b32_e32 v8, v86, v87, vcc
	v_max_f32_e32 v10, v8, v8
	s_mov_b32 s6, 0x3fb8aa3b
	s_mov_b32 s14, 0xc2ce8ed0
	v_cmp_eq_u32_e64 s[8:9], 0, v1
	s_mov_b32 s15, 0x42b17218
	v_mov_b32_e32 v9, 0x7f800000
	v_cndmask_b32_e32 v11, v93, v94, vcc
	s_waitcnt vmcnt(4)
	v_max_f32_e32 v12, v2, v2
	v_max_f32_e32 v10, v12, v10
	v_sub_f32_e32 v8, v8, v10
	v_sub_f32_e32 v2, v2, v10
	v_mul_f32_e32 v12, 0x3fb8aa3b, v8
	v_mul_f32_e32 v13, 0x3fb8aa3b, v2
	v_fma_f32 v14, v8, s6, -v12
	v_rndne_f32_e32 v15, v12
	v_fma_f32 v16, v2, s6, -v13
	v_rndne_f32_e32 v17, v13
	v_fmac_f32_e32 v14, 0x32a5705f, v8
	v_sub_f32_e32 v12, v12, v15
	v_fmac_f32_e32 v16, 0x32a5705f, v2
	v_sub_f32_e32 v13, v13, v17
	v_add_f32_e32 v12, v12, v14
	v_cvt_i32_f32_e32 v15, v15
	v_add_f32_e32 v13, v13, v16
	v_exp_f32_e32 v12, v12
	v_cvt_i32_f32_e32 v17, v17
	v_exp_f32_e32 v13, v13
	v_cndmask_b32_e32 v87, v87, v10, vcc
	v_cndmask_b32_e64 v86, v86, v10, s[8:9]
	v_ldexp_f32 v10, v12, v15
	v_cmp_ngt_f32_e64 s[10:11], s14, v8
	v_ldexp_f32 v12, v13, v17
	v_cndmask_b32_e64 v10, 0, v10, s[10:11]
	v_cmp_ngt_f32_e64 s[10:11], s14, v2
	v_cndmask_b32_e64 v12, 0, v12, s[10:11]
	v_cmp_nlt_f32_e64 s[10:11], s15, v8
	v_cndmask_b32_e64 v8, v9, v10, s[10:11]
	v_cmp_nlt_f32_e64 s[10:11], s15, v2
	v_cndmask_b32_e64 v2, v9, v12, s[10:11]
	v_cvt_f16_f32_e32 v9, v8
	v_cmp_eq_u32_e64 s[10:11], 0, v0
	v_cndmask_b32_e64 v2, 0, v2, s[10:11]
	v_fmac_f32_e32 v2, v11, v8
	v_cndmask_b32_e32 v94, v94, v2, vcc
	v_cndmask_b32_e64 v93, v93, v2, s[8:9]
	v_mul_u32_u24_e32 v2, 0x10001, v9
	s_waitcnt vmcnt(3)
	v_pk_mul_f16 v4, v4, v2
	s_waitcnt vmcnt(2)
	v_pk_mul_f16 v5, v5, v2
	;; [unrolled: 2-line block ×4, first 2 shown]
	buffer_store_dword v4, v3, s[0:3], 0 offen
	buffer_store_dword v5, v3, s[0:3], 0 offen offset:4
	buffer_store_dword v6, v3, s[0:3], 0 offen offset:8
	;; [unrolled: 1-line block ×3, first 2 shown]
.LBB31_74:
	s_or_b64 exec, exec, s[12:13]
	v_cmp_eq_u32_e32 vcc, 0, v1
	v_add_u32_e32 v4, 0x900, v90
	v_or_b32_e32 v10, 0x800, v90
	s_and_saveexec_b64 s[8:9], vcc
	s_cbranch_execz .LBB31_76
; %bb.75:
	v_mov_b32_e32 v2, 0xfeffffff
	v_mov_b32_e32 v3, 0
	ds_write2_b32 v10, v2, v2 offset1:32
	ds_write2_b32 v4, v3, v3 offset1:32
.LBB31_76:
	s_or_b64 exec, exec, s[8:9]
	v_cmp_eq_u32_e64 s[8:9], 0, v0
	s_waitcnt vmcnt(0) lgkmcnt(0)
	s_barrier
	s_and_saveexec_b64 s[10:11], s[8:9]
; %bb.77:
	v_lshlrev_b32_e32 v2, 2, v1
	v_add_u32_e32 v2, 0x800, v2
	ds_write2_b32 v2, v86, v87 offset1:32
; %bb.78:
	s_or_b64 exec, exec, s[10:11]
	s_cmp_lt_i32 s26, s22
	s_waitcnt lgkmcnt(0)
	s_barrier
	s_cbranch_scc1 .LBB31_80
; %bb.79:
	s_load_dword s12, s[4:5], 0xd4
	s_mul_i32 s6, s33, s22
	s_cbranch_execz .LBB31_81
	s_branch .LBB31_88
.LBB31_80:
                                        ; implicit-def: $sgpr12
	s_mul_i32 s6, s33, s22
.LBB31_81:
	v_mbcnt_hi_u32_b32 v2, -1, v95
	ds_read_b32 v7, v10
	buffer_load_dword v12, off, s[0:3], 0
	buffer_load_dword v14, off, s[0:3], 0 offset:4
	buffer_load_dword v15, off, s[0:3], 0 offset:8
	v_and_b32_e32 v3, 0x60, v2
	v_add_u32_e32 v3, 32, v3
	v_xor_b32_e32 v5, 16, v2
	buffer_load_dword v16, off, s[0:3], 0 offset:12
	v_cmp_lt_i32_e32 vcc, v5, v3
	v_cndmask_b32_e32 v5, v2, v5, vcc
	v_lshlrev_b32_e32 v5, 2, v5
	s_waitcnt lgkmcnt(0)
	ds_bpermute_b32 v8, v5, v7
	v_xor_b32_e32 v6, 8, v2
	v_cmp_lt_i32_e32 vcc, v6, v3
	v_cndmask_b32_e32 v6, v2, v6, vcc
	v_max_f32_e32 v7, v7, v7
	s_waitcnt lgkmcnt(0)
	v_max_f32_e32 v8, v8, v8
	v_lshlrev_b32_e32 v6, 2, v6
	v_max_f32_e32 v8, v7, v8
	ds_bpermute_b32 v9, v6, v8
	v_xor_b32_e32 v7, 4, v2
	v_cmp_lt_i32_e32 vcc, v7, v3
	v_cndmask_b32_e32 v7, v2, v7, vcc
	v_lshlrev_b32_e32 v7, 2, v7
	s_waitcnt lgkmcnt(0)
	v_max_f32_e32 v9, v9, v9
	v_max_f32_e32 v9, v8, v9
	ds_bpermute_b32 v11, v7, v9
	v_xor_b32_e32 v8, 2, v2
	v_cmp_lt_i32_e32 vcc, v8, v3
	v_cndmask_b32_e32 v8, v2, v8, vcc
	v_lshlrev_b32_e32 v8, 2, v8
	s_waitcnt lgkmcnt(0)
	v_max_f32_e32 v11, v11, v11
	;; [unrolled: 8-line block ×3, first 2 shown]
	v_max_f32_e32 v2, v11, v2
	ds_bpermute_b32 v3, v9, v2
	s_mov_b32 s10, 0x3fb8aa3b
	v_lshlrev_b32_e32 v18, 3, v0
	s_load_dword s12, s[4:5], 0xd4
	s_waitcnt lgkmcnt(0)
	v_max_f32_e32 v3, v3, v3
	v_max_f32_e32 v2, v2, v3
	v_sub_f32_e32 v3, v86, v2
	v_mul_f32_e32 v11, 0x3fb8aa3b, v3
	v_fma_f32 v13, v3, s10, -v11
	v_rndne_f32_e32 v17, v11
	v_fmac_f32_e32 v13, 0x32a5705f, v3
	v_sub_f32_e32 v11, v11, v17
	v_add_f32_e32 v11, v11, v13
	v_exp_f32_e32 v11, v11
	v_cvt_i32_f32_e32 v13, v17
	s_mov_b32 s10, 0xc2ce8ed0
	v_cmp_ngt_f32_e32 vcc, s10, v3
	s_mov_b32 s10, 0x42b17218
	v_ldexp_f32 v11, v11, v13
	v_cndmask_b32_e32 v11, 0, v11, vcc
	v_mov_b32_e32 v13, 0x7f800000
	v_cmp_nlt_f32_e32 vcc, s10, v3
	v_cndmask_b32_e32 v3, v13, v11, vcc
	v_mul_f32_e32 v11, v93, v3
	ds_bpermute_b32 v11, v5, v11
	v_mov_b32_e32 v17, 0x900
	v_lshl_add_u32 v1, v1, 2, v17
	s_waitcnt lgkmcnt(0)
	v_fmac_f32_e32 v11, v93, v3
	ds_bpermute_b32 v13, v6, v11
	v_cvt_f16_f32_e32 v3, v3
	s_waitcnt lgkmcnt(0)
	v_add_f32_e32 v13, v11, v13
	ds_bpermute_b32 v19, v7, v13
	v_mul_u32_u24_e32 v17, 0x10001, v3
	v_add_u32_e32 v11, v88, v18
	s_waitcnt lgkmcnt(0)
	v_add_f32_e32 v3, v13, v19
	ds_bpermute_b32 v18, v8, v3
	s_waitcnt vmcnt(3)
	v_pk_mul_f16 v13, v12, v17
	s_waitcnt vmcnt(2)
	v_pk_mul_f16 v14, v14, v17
	;; [unrolled: 2-line block ×4, first 2 shown]
	s_waitcnt lgkmcnt(0)
	v_add_f32_e32 v3, v3, v18
	ds_bpermute_b32 v12, v9, v3
	buffer_store_dword v13, off, s[0:3], 0
	buffer_store_dword v14, off, s[0:3], 0 offset:4
	buffer_store_dword v15, off, s[0:3], 0 offset:8
	;; [unrolled: 1-line block ×3, first 2 shown]
	ds_write2_b64 v11, v[13:14], v[15:16] offset1:32
	s_and_saveexec_b64 s[4:5], s[8:9]
	s_cbranch_execz .LBB31_83
; %bb.82:
	s_waitcnt lgkmcnt(1)
	v_add_f32_e32 v3, v3, v12
	ds_write_b32 v1, v3
.LBB31_83:
	s_or_b64 exec, exec, s[4:5]
	s_waitcnt vmcnt(0) lgkmcnt(0)
	s_barrier
	ds_read_b32 v3, v4
	ds_read_u16 v12, v91
	ds_read_u16 v13, v91 offset:1280
	ds_read_u16 v14, v91 offset:768
	;; [unrolled: 1-line block ×3, first 2 shown]
	s_waitcnt lgkmcnt(4)
	ds_bpermute_b32 v16, v5, v3
	ds_read_u16 v17, v91 offset:512
	ds_read_u16 v18, v91 offset:1024
	;; [unrolled: 1-line block ×4, first 2 shown]
	s_waitcnt lgkmcnt(8)
	v_cvt_f32_f16_e32 v12, v12
	s_waitcnt lgkmcnt(3)
	v_cvt_f32_f16_e32 v17, v17
	;; [unrolled: 2-line block ×3, first 2 shown]
	v_add_f32_e32 v3, v3, v16
	ds_bpermute_b32 v16, v6, v3
	s_waitcnt lgkmcnt(2)
	v_cvt_f32_f16_e32 v19, v19
	v_cvt_f32_f16_e32 v15, v15
	;; [unrolled: 1-line block ×3, first 2 shown]
	v_add_f32_e32 v12, 0, v12
	s_waitcnt lgkmcnt(0)
	v_add_f32_e32 v3, v3, v16
	ds_bpermute_b32 v16, v7, v3
	v_cvt_f32_f16_e32 v13, v13
	v_add_f32_e32 v12, v12, v17
	v_cvt_f32_f16_e32 v20, v20
	v_add_f32_e32 v12, v12, v18
	s_waitcnt lgkmcnt(0)
	v_add_f32_e32 v3, v3, v16
	ds_bpermute_b32 v16, v8, v3
	v_add_f32_e32 v12, v12, v19
	v_add_f32_e32 v15, 0, v15
	;; [unrolled: 1-line block ×4, first 2 shown]
	s_waitcnt lgkmcnt(0)
	v_add_f32_e32 v3, v3, v16
	ds_bpermute_b32 v16, v9, v3
	v_add_f32_e32 v14, v13, v20
	s_cmp_eq_u32 s12, 1
	s_waitcnt lgkmcnt(0)
	v_add_f32_e32 v93, v3, v16
	v_div_scale_f32 v3, s[4:5], v93, v93, v12
	v_div_scale_f32 v13, s[4:5], v93, v93, v14
	v_div_scale_f32 v15, vcc, v12, v93, v12
	v_div_scale_f32 v16, s[4:5], v14, v93, v14
	v_rcp_f32_e32 v17, v3
	v_rcp_f32_e32 v18, v13
	v_fma_f32 v19, -v3, v17, 1.0
	v_fmac_f32_e32 v17, v19, v17
	v_mul_f32_e32 v19, v15, v17
	v_fma_f32 v20, -v13, v18, 1.0
	v_fma_f32 v21, -v3, v19, v15
	v_fmac_f32_e32 v18, v20, v18
	v_fmac_f32_e32 v19, v21, v17
	v_mul_f32_e32 v20, v16, v18
	v_fma_f32 v3, -v3, v19, v15
	v_div_fmas_f32 v15, v3, v17, v19
	v_fma_f32 v3, -v13, v20, v16
	v_fmac_f32_e32 v20, v3, v18
	v_fma_f32 v3, -v13, v20, v16
	s_mov_b64 vcc, s[4:5]
	v_div_fmas_f32 v16, v3, v18, v20
	s_cselect_b64 s[4:5], -1, 0
	s_add_i32 s10, s6, s26
	s_mul_i32 s13, s10, s23
	s_add_i32 s13, s13, s24
	s_mul_i32 s10, s12, s13
	s_add_i32 s10, s10, s7
	v_mov_b32_e32 v13, 0
	v_mov_b32_e32 v17, s49
	;; [unrolled: 1-line block ×3, first 2 shown]
	v_div_fixup_f32 v15, v15, v93, v12
	v_cndmask_b32_e64 v15, v12, v15, s[4:5]
	v_div_fixup_f32 v12, v16, v93, v14
	v_cndmask_b32_e64 v14, v14, v12, s[4:5]
	v_lshl_or_b32 v12, s10, 8, v89
	v_lshlrev_b64 v[12:13], 2, v[12:13]
	s_or_b32 s10, s26, 1
	v_add_co_u32_e32 v12, vcc, s48, v12
	v_addc_co_u32_e32 v13, vcc, v17, v13, vcc
	s_cmp_ge_i32 s10, s22
	global_store_dword v[12:13], v15, off
	global_store_dword v[12:13], v14, off offset:512
	s_waitcnt vmcnt(0)
	s_barrier
	s_cbranch_scc1 .LBB31_87
; %bb.84:
	ds_read_b32 v3, v10 offset:128
	buffer_load_dword v13, off, s[0:3], 0 offset:16
	buffer_load_dword v14, off, s[0:3], 0 offset:20
	;; [unrolled: 1-line block ×4, first 2 shown]
	s_mov_b32 s10, 0x3fb8aa3b
	s_mov_b32 s11, 0x42b17218
	s_waitcnt lgkmcnt(0)
	ds_bpermute_b32 v10, v5, v3
	v_max_f32_e32 v3, v3, v3
	s_waitcnt lgkmcnt(0)
	v_max_f32_e32 v10, v10, v10
	v_max_f32_e32 v3, v3, v10
	ds_bpermute_b32 v10, v6, v3
	s_waitcnt lgkmcnt(0)
	v_max_f32_e32 v10, v10, v10
	v_max_f32_e32 v3, v3, v10
	ds_bpermute_b32 v10, v7, v3
	;; [unrolled: 4-line block ×4, first 2 shown]
	s_waitcnt lgkmcnt(0)
	v_max_f32_e32 v10, v10, v10
	v_max_f32_e32 v3, v3, v10
	v_sub_f32_e32 v10, v87, v3
	v_mul_f32_e32 v12, 0x3fb8aa3b, v10
	v_fma_f32 v17, v10, s10, -v12
	v_rndne_f32_e32 v18, v12
	v_fmac_f32_e32 v17, 0x32a5705f, v10
	v_sub_f32_e32 v12, v12, v18
	v_add_f32_e32 v12, v12, v17
	v_cvt_i32_f32_e32 v18, v18
	v_exp_f32_e32 v12, v12
	s_mov_b32 s10, 0xc2ce8ed0
	v_cmp_ngt_f32_e32 vcc, s10, v10
	v_mov_b32_e32 v17, 0x7f800000
	v_ldexp_f32 v12, v12, v18
	v_cndmask_b32_e32 v12, 0, v12, vcc
	v_cmp_nlt_f32_e32 vcc, s11, v10
	v_cndmask_b32_e32 v10, v17, v12, vcc
	v_mul_f32_e32 v12, v94, v10
	ds_bpermute_b32 v12, v5, v12
	s_waitcnt lgkmcnt(0)
	v_fmac_f32_e32 v12, v94, v10
	ds_bpermute_b32 v17, v6, v12
	v_cvt_f16_f32_e32 v10, v10
	s_waitcnt lgkmcnt(0)
	v_add_f32_e32 v12, v12, v17
	ds_bpermute_b32 v17, v7, v12
	v_mul_u32_u24_e32 v18, 0x10001, v10
	s_waitcnt lgkmcnt(0)
	v_add_f32_e32 v12, v12, v17
	ds_bpermute_b32 v17, v8, v12
	s_waitcnt vmcnt(3)
	v_pk_mul_f16 v13, v13, v18
	s_waitcnt vmcnt(2)
	v_pk_mul_f16 v14, v14, v18
	s_waitcnt lgkmcnt(0)
	v_add_f32_e32 v10, v12, v17
	ds_bpermute_b32 v12, v9, v10
	s_waitcnt vmcnt(1)
	v_pk_mul_f16 v15, v15, v18
	s_waitcnt vmcnt(0)
	v_pk_mul_f16 v16, v16, v18
	buffer_store_dword v13, off, s[0:3], 0 offset:16
	buffer_store_dword v14, off, s[0:3], 0 offset:20
	;; [unrolled: 1-line block ×4, first 2 shown]
	ds_write2_b64 v11, v[13:14], v[15:16] offset1:32
	s_and_saveexec_b64 s[10:11], s[8:9]
	s_cbranch_execz .LBB31_86
; %bb.85:
	s_waitcnt lgkmcnt(1)
	v_add_f32_e32 v10, v10, v12
	ds_write_b32 v1, v10 offset:128
.LBB31_86:
	s_or_b64 exec, exec, s[10:11]
	s_waitcnt vmcnt(0) lgkmcnt(0)
	s_barrier
	ds_read_b32 v1, v4 offset:128
	ds_read_u16 v4, v91
	ds_read_u16 v10, v91 offset:1280
	ds_read_u16 v11, v91 offset:768
	;; [unrolled: 1-line block ×3, first 2 shown]
	s_waitcnt lgkmcnt(4)
	ds_bpermute_b32 v5, v5, v1
	s_waitcnt lgkmcnt(4)
	v_cvt_f32_f16_e32 v4, v4
	s_waitcnt lgkmcnt(3)
	v_cvt_f32_f16_e32 v10, v10
	;; [unrolled: 2-line block ×3, first 2 shown]
	s_add_i32 s13, s13, s23
	s_waitcnt lgkmcnt(0)
	v_add_f32_e32 v1, v1, v5
	ds_bpermute_b32 v5, v6, v1
	ds_read_u16 v6, v91 offset:512
	ds_read_u16 v13, v91 offset:1024
	;; [unrolled: 1-line block ×4, first 2 shown]
	v_add_f32_e32 v4, 0, v4
	s_waitcnt lgkmcnt(3)
	v_cvt_f32_f16_e32 v6, v6
	v_add_f32_e32 v1, v1, v5
	ds_bpermute_b32 v5, v7, v1
	s_waitcnt lgkmcnt(3)
	v_cvt_f32_f16_e32 v7, v13
	s_waitcnt lgkmcnt(2)
	v_cvt_f32_f16_e32 v13, v14
	v_add_f32_e32 v4, v4, v6
	s_waitcnt lgkmcnt(0)
	v_add_f32_e32 v1, v1, v5
	ds_bpermute_b32 v5, v8, v1
	v_cvt_f32_f16_e32 v8, v12
	v_cvt_f32_f16_e32 v12, v15
	v_add_f32_e32 v4, v4, v7
	v_add_f32_e32 v6, v4, v13
	s_waitcnt lgkmcnt(0)
	v_add_f32_e32 v1, v1, v5
	ds_bpermute_b32 v5, v9, v1
	v_add_f32_e32 v4, 0, v8
	v_add_f32_e32 v4, v4, v11
	;; [unrolled: 1-line block ×4, first 2 shown]
	s_waitcnt lgkmcnt(0)
	v_add_f32_e32 v94, v1, v5
	v_div_scale_f32 v1, s[8:9], v94, v94, v6
	v_div_scale_f32 v4, s[8:9], v94, v94, v7
	v_div_scale_f32 v5, vcc, v6, v94, v6
	v_div_scale_f32 v8, s[8:9], v7, v94, v7
	v_rcp_f32_e32 v9, v1
	v_rcp_f32_e32 v10, v4
	v_fma_f32 v11, -v1, v9, 1.0
	v_fmac_f32_e32 v9, v11, v9
	v_fma_f32 v12, -v4, v10, 1.0
	v_fmac_f32_e32 v10, v12, v10
	v_mul_f32_e32 v11, v5, v9
	v_mul_f32_e32 v12, v8, v10
	v_fma_f32 v13, -v1, v11, v5
	v_fma_f32 v14, -v4, v12, v8
	v_fmac_f32_e32 v11, v13, v9
	v_fmac_f32_e32 v12, v14, v10
	v_fma_f32 v1, -v1, v11, v5
	v_fma_f32 v4, -v4, v12, v8
	v_div_fmas_f32 v1, v1, v9, v11
	s_mov_b64 vcc, s[8:9]
	v_div_fmas_f32 v8, v4, v10, v12
	s_mul_i32 s8, s12, s13
	s_add_i32 s8, s8, s7
	v_mov_b32_e32 v5, 0
	v_lshl_or_b32 v4, s8, 8, v89
	v_lshlrev_b64 v[4:5], 2, v[4:5]
	v_mov_b32_e32 v9, s49
	v_add_co_u32_e32 v4, vcc, s48, v4
	v_addc_co_u32_e32 v5, vcc, v9, v5, vcc
	v_div_fixup_f32 v1, v1, v94, v6
	v_cndmask_b32_e64 v1, v6, v1, s[4:5]
	v_div_fixup_f32 v6, v8, v94, v7
	global_store_dword v[4:5], v1, off
	v_cndmask_b32_e64 v1, v7, v6, s[4:5]
	global_store_dword v[4:5], v1, off offset:512
.LBB31_87:
	v_mov_b32_e32 v87, v3
	v_mov_b32_e32 v86, v2
.LBB31_88:
	s_waitcnt lgkmcnt(0)
	s_cmp_lg_u32 s12, 1
	s_cselect_b64 s[4:5], -1, 0
	v_cmp_gt_u32_e32 vcc, 2, v89
	v_or_b32_e32 v0, s26, v0
	s_and_b64 s[4:5], s[4:5], vcc
	v_cmp_gt_i32_e32 vcc, s22, v0
	s_and_b64 s[4:5], s[4:5], vcc
	s_and_saveexec_b64 s[8:9], s[4:5]
	s_cbranch_execz .LBB31_90
; %bb.89:
	v_add_u32_e32 v0, s6, v0
	v_mul_lo_u32 v1, v0, s23
	v_mov_b32_e32 v3, 0
	v_cmp_eq_u32_e32 vcc, 1, v89
	v_cndmask_b32_e32 v0, v86, v87, vcc
	v_add_u32_e32 v1, s24, v1
	v_mul_lo_u32 v2, s12, v1
	v_mov_b32_e32 v4, s51
	v_cndmask_b32_e32 v1, v93, v94, vcc
	v_add_u32_e32 v2, s7, v2
	v_lshlrev_b64 v[2:3], 3, v[2:3]
	v_add_co_u32_e32 v2, vcc, s50, v2
	v_addc_co_u32_e32 v3, vcc, v4, v3, vcc
	global_store_dwordx2 v[2:3], v[0:1], off
.LBB31_90:
	s_endpgm
	.section	.rodata,"a",@progbits
	.p2align	6, 0x0
	.amdhsa_kernel _ZL18flash_attn_ext_vecILi256ELi2EL9ggml_type2ELS0_8ELb1EEvPKcS2_S2_S2_S2_PKiPfP15HIP_vector_typeIfLj2EEffffjfiS6_IjLj3EEiiiiiiiiiiiliiliiiiil
		.amdhsa_group_segment_fixed_size 2560
		.amdhsa_private_segment_fixed_size 48
		.amdhsa_kernarg_size 464
		.amdhsa_user_sgpr_count 6
		.amdhsa_user_sgpr_private_segment_buffer 1
		.amdhsa_user_sgpr_dispatch_ptr 0
		.amdhsa_user_sgpr_queue_ptr 0
		.amdhsa_user_sgpr_kernarg_segment_ptr 1
		.amdhsa_user_sgpr_dispatch_id 0
		.amdhsa_user_sgpr_flat_scratch_init 0
		.amdhsa_user_sgpr_private_segment_size 0
		.amdhsa_uses_dynamic_stack 0
		.amdhsa_system_sgpr_private_segment_wavefront_offset 1
		.amdhsa_system_sgpr_workgroup_id_x 1
		.amdhsa_system_sgpr_workgroup_id_y 1
		.amdhsa_system_sgpr_workgroup_id_z 1
		.amdhsa_system_sgpr_workgroup_info 0
		.amdhsa_system_vgpr_workitem_id 1
		.amdhsa_next_free_vgpr 215
		.amdhsa_next_free_sgpr 61
		.amdhsa_reserve_vcc 1
		.amdhsa_reserve_flat_scratch 0
		.amdhsa_float_round_mode_32 0
		.amdhsa_float_round_mode_16_64 0
		.amdhsa_float_denorm_mode_32 3
		.amdhsa_float_denorm_mode_16_64 3
		.amdhsa_dx10_clamp 1
		.amdhsa_ieee_mode 1
		.amdhsa_fp16_overflow 0
		.amdhsa_exception_fp_ieee_invalid_op 0
		.amdhsa_exception_fp_denorm_src 0
		.amdhsa_exception_fp_ieee_div_zero 0
		.amdhsa_exception_fp_ieee_overflow 0
		.amdhsa_exception_fp_ieee_underflow 0
		.amdhsa_exception_fp_ieee_inexact 0
		.amdhsa_exception_int_div_zero 0
	.end_amdhsa_kernel
	.section	.text._ZL18flash_attn_ext_vecILi256ELi2EL9ggml_type2ELS0_8ELb1EEvPKcS2_S2_S2_S2_PKiPfP15HIP_vector_typeIfLj2EEffffjfiS6_IjLj3EEiiiiiiiiiiiliiliiiiil,"axG",@progbits,_ZL18flash_attn_ext_vecILi256ELi2EL9ggml_type2ELS0_8ELb1EEvPKcS2_S2_S2_S2_PKiPfP15HIP_vector_typeIfLj2EEffffjfiS6_IjLj3EEiiiiiiiiiiiliiliiiiil,comdat
.Lfunc_end31:
	.size	_ZL18flash_attn_ext_vecILi256ELi2EL9ggml_type2ELS0_8ELb1EEvPKcS2_S2_S2_S2_PKiPfP15HIP_vector_typeIfLj2EEffffjfiS6_IjLj3EEiiiiiiiiiiiliiliiiiil, .Lfunc_end31-_ZL18flash_attn_ext_vecILi256ELi2EL9ggml_type2ELS0_8ELb1EEvPKcS2_S2_S2_S2_PKiPfP15HIP_vector_typeIfLj2EEffffjfiS6_IjLj3EEiiiiiiiiiiiliiliiiiil
                                        ; -- End function
	.set _ZL18flash_attn_ext_vecILi256ELi2EL9ggml_type2ELS0_8ELb1EEvPKcS2_S2_S2_S2_PKiPfP15HIP_vector_typeIfLj2EEffffjfiS6_IjLj3EEiiiiiiiiiiiliiliiiiil.num_vgpr, 215
	.set _ZL18flash_attn_ext_vecILi256ELi2EL9ggml_type2ELS0_8ELb1EEvPKcS2_S2_S2_S2_PKiPfP15HIP_vector_typeIfLj2EEffffjfiS6_IjLj3EEiiiiiiiiiiiliiliiiiil.num_agpr, 0
	.set _ZL18flash_attn_ext_vecILi256ELi2EL9ggml_type2ELS0_8ELb1EEvPKcS2_S2_S2_S2_PKiPfP15HIP_vector_typeIfLj2EEffffjfiS6_IjLj3EEiiiiiiiiiiiliiliiiiil.numbered_sgpr, 60
	.set _ZL18flash_attn_ext_vecILi256ELi2EL9ggml_type2ELS0_8ELb1EEvPKcS2_S2_S2_S2_PKiPfP15HIP_vector_typeIfLj2EEffffjfiS6_IjLj3EEiiiiiiiiiiiliiliiiiil.num_named_barrier, 0
	.set _ZL18flash_attn_ext_vecILi256ELi2EL9ggml_type2ELS0_8ELb1EEvPKcS2_S2_S2_S2_PKiPfP15HIP_vector_typeIfLj2EEffffjfiS6_IjLj3EEiiiiiiiiiiiliiliiiiil.private_seg_size, 48
	.set _ZL18flash_attn_ext_vecILi256ELi2EL9ggml_type2ELS0_8ELb1EEvPKcS2_S2_S2_S2_PKiPfP15HIP_vector_typeIfLj2EEffffjfiS6_IjLj3EEiiiiiiiiiiiliiliiiiil.uses_vcc, 1
	.set _ZL18flash_attn_ext_vecILi256ELi2EL9ggml_type2ELS0_8ELb1EEvPKcS2_S2_S2_S2_PKiPfP15HIP_vector_typeIfLj2EEffffjfiS6_IjLj3EEiiiiiiiiiiiliiliiiiil.uses_flat_scratch, 0
	.set _ZL18flash_attn_ext_vecILi256ELi2EL9ggml_type2ELS0_8ELb1EEvPKcS2_S2_S2_S2_PKiPfP15HIP_vector_typeIfLj2EEffffjfiS6_IjLj3EEiiiiiiiiiiiliiliiiiil.has_dyn_sized_stack, 0
	.set _ZL18flash_attn_ext_vecILi256ELi2EL9ggml_type2ELS0_8ELb1EEvPKcS2_S2_S2_S2_PKiPfP15HIP_vector_typeIfLj2EEffffjfiS6_IjLj3EEiiiiiiiiiiiliiliiiiil.has_recursion, 0
	.set _ZL18flash_attn_ext_vecILi256ELi2EL9ggml_type2ELS0_8ELb1EEvPKcS2_S2_S2_S2_PKiPfP15HIP_vector_typeIfLj2EEffffjfiS6_IjLj3EEiiiiiiiiiiiliiliiiiil.has_indirect_call, 0
	.section	.AMDGPU.csdata,"",@progbits
; Kernel info:
; codeLenInByte = 29016
; TotalNumSgprs: 64
; NumVgprs: 215
; ScratchSize: 48
; MemoryBound: 0
; FloatMode: 240
; IeeeMode: 1
; LDSByteSize: 2560 bytes/workgroup (compile time only)
; SGPRBlocks: 8
; VGPRBlocks: 53
; NumSGPRsForWavesPerEU: 65
; NumVGPRsForWavesPerEU: 215
; Occupancy: 1
; WaveLimiterHint : 1
; COMPUTE_PGM_RSRC2:SCRATCH_EN: 1
; COMPUTE_PGM_RSRC2:USER_SGPR: 6
; COMPUTE_PGM_RSRC2:TRAP_HANDLER: 0
; COMPUTE_PGM_RSRC2:TGID_X_EN: 1
; COMPUTE_PGM_RSRC2:TGID_Y_EN: 1
; COMPUTE_PGM_RSRC2:TGID_Z_EN: 1
; COMPUTE_PGM_RSRC2:TIDIG_COMP_CNT: 1
	.section	.AMDGPU.gpr_maximums,"",@progbits
	.set amdgpu.max_num_vgpr, 41
	.set amdgpu.max_num_agpr, 0
	.set amdgpu.max_num_sgpr, 34
	.section	.AMDGPU.csdata,"",@progbits
	.type	.str.3,@object                  ; @.str.3
	.section	.rodata.str1.1,"aMS",@progbits,1
.str.3:
	.asciz	"/root/src/amdgpu-assembly/repos/ggml-org__llama.cpp/ggml/src/ggml-cuda/template-instances/../fattn-vec.cuh"
	.size	.str.3, 107

	.type	__FUNCTION__._ZL18flash_attn_ext_vecILi64ELi1EL9ggml_type2ELS0_8ELb1EEvPKcS2_S2_S2_S2_PKiPfP15HIP_vector_typeIfLj2EEffffjfiS6_IjLj3EEiiiiiiiiiiiliiliiiiil,@object ; @__FUNCTION__._ZL18flash_attn_ext_vecILi64ELi1EL9ggml_type2ELS0_8ELb1EEvPKcS2_S2_S2_S2_PKiPfP15HIP_vector_typeIfLj2EEffffjfiS6_IjLj3EEiiiiiiiiiiiliiliiiiil
__FUNCTION__._ZL18flash_attn_ext_vecILi64ELi1EL9ggml_type2ELS0_8ELb1EEvPKcS2_S2_S2_S2_PKiPfP15HIP_vector_typeIfLj2EEffffjfiS6_IjLj3EEiiiiiiiiiiiliiliiiiil:
	.asciz	"flash_attn_ext_vec"
	.size	__FUNCTION__._ZL18flash_attn_ext_vecILi64ELi1EL9ggml_type2ELS0_8ELb1EEvPKcS2_S2_S2_S2_PKiPfP15HIP_vector_typeIfLj2EEffffjfiS6_IjLj3EEiiiiiiiiiiiliiliiiiil, 19

	.type	.str.5,@object                  ; @.str.5
.str.5:
	.asciz	"%s:%d: ERROR: HIP kernel %s has no device code compatible with HIP arch %d.\n"
	.size	.str.5, 77

	.type	__hip_cuid_7fd8332ebfcd1556,@object ; @__hip_cuid_7fd8332ebfcd1556
	.section	.bss,"aw",@nobits
	.globl	__hip_cuid_7fd8332ebfcd1556
__hip_cuid_7fd8332ebfcd1556:
	.byte	0                               ; 0x0
	.size	__hip_cuid_7fd8332ebfcd1556, 1

	.ident	"AMD clang version 22.0.0git (https://github.com/RadeonOpenCompute/llvm-project roc-7.2.4 26084 f58b06dce1f9c15707c5f808fd002e18c2accf7e)"
	.section	".note.GNU-stack","",@progbits
	.addrsig
	.addrsig_sym __hip_cuid_7fd8332ebfcd1556
	.amdgpu_metadata
---
amdhsa.kernels:
  - .args:
      - .address_space:  global
        .offset:         0
        .size:           8
        .value_kind:     global_buffer
      - .address_space:  global
        .offset:         8
        .size:           8
        .value_kind:     global_buffer
      - .address_space:  global
        .offset:         16
        .size:           8
        .value_kind:     global_buffer
      - .address_space:  global
        .offset:         24
        .size:           8
        .value_kind:     global_buffer
      - .address_space:  global
        .offset:         32
        .size:           8
        .value_kind:     global_buffer
      - .address_space:  global
        .offset:         40
        .size:           8
        .value_kind:     global_buffer
      - .address_space:  global
        .offset:         48
        .size:           8
        .value_kind:     global_buffer
      - .address_space:  global
        .offset:         56
        .size:           8
        .value_kind:     global_buffer
      - .offset:         64
        .size:           4
        .value_kind:     by_value
      - .offset:         68
        .size:           4
        .value_kind:     by_value
      - .offset:         72
        .size:           4
        .value_kind:     by_value
      - .offset:         76
        .size:           4
        .value_kind:     by_value
      - .offset:         80
        .size:           4
        .value_kind:     by_value
      - .offset:         84
        .size:           4
        .value_kind:     by_value
      - .offset:         88
        .size:           4
        .value_kind:     by_value
      - .offset:         92
        .size:           12
        .value_kind:     by_value
      - .offset:         104
        .size:           4
        .value_kind:     by_value
      - .offset:         108
        .size:           4
        .value_kind:     by_value
      - .offset:         112
        .size:           4
        .value_kind:     by_value
      - .offset:         116
        .size:           4
        .value_kind:     by_value
      - .offset:         120
        .size:           4
        .value_kind:     by_value
      - .offset:         124
        .size:           4
        .value_kind:     by_value
      - .offset:         128
        .size:           4
        .value_kind:     by_value
      - .offset:         132
        .size:           4
        .value_kind:     by_value
      - .offset:         136
        .size:           4
        .value_kind:     by_value
      - .offset:         140
        .size:           4
        .value_kind:     by_value
      - .offset:         144
        .size:           4
        .value_kind:     by_value
      - .offset:         152
        .size:           8
        .value_kind:     by_value
      - .offset:         160
        .size:           4
        .value_kind:     by_value
      - .offset:         164
        .size:           4
        .value_kind:     by_value
      - .offset:         168
        .size:           8
        .value_kind:     by_value
      - .offset:         176
        .size:           4
        .value_kind:     by_value
      - .offset:         180
        .size:           4
        .value_kind:     by_value
      - .offset:         184
        .size:           4
        .value_kind:     by_value
      - .offset:         188
        .size:           4
        .value_kind:     by_value
      - .offset:         192
        .size:           4
        .value_kind:     by_value
      - .offset:         200
        .size:           8
        .value_kind:     by_value
      - .offset:         208
        .size:           4
        .value_kind:     hidden_block_count_x
      - .offset:         212
        .size:           4
        .value_kind:     hidden_block_count_y
      - .offset:         216
        .size:           4
        .value_kind:     hidden_block_count_z
      - .offset:         220
        .size:           2
        .value_kind:     hidden_group_size_x
      - .offset:         222
        .size:           2
        .value_kind:     hidden_group_size_y
      - .offset:         224
        .size:           2
        .value_kind:     hidden_group_size_z
      - .offset:         226
        .size:           2
        .value_kind:     hidden_remainder_x
      - .offset:         228
        .size:           2
        .value_kind:     hidden_remainder_y
      - .offset:         230
        .size:           2
        .value_kind:     hidden_remainder_z
      - .offset:         248
        .size:           8
        .value_kind:     hidden_global_offset_x
      - .offset:         256
        .size:           8
        .value_kind:     hidden_global_offset_y
      - .offset:         264
        .size:           8
        .value_kind:     hidden_global_offset_z
      - .offset:         272
        .size:           2
        .value_kind:     hidden_grid_dims
    .group_segment_fixed_size: 1280
    .kernarg_segment_align: 8
    .kernarg_segment_size: 464
    .language:       OpenCL C
    .language_version:
      - 2
      - 0
    .max_flat_workgroup_size: 128
    .name:           _ZL18flash_attn_ext_vecILi64ELi1EL9ggml_type2ELS0_8ELb0EEvPKcS2_S2_S2_S2_PKiPfP15HIP_vector_typeIfLj2EEffffjfiS6_IjLj3EEiiiiiiiiiiiliiliiiiil
    .private_segment_fixed_size: 0
    .sgpr_count:     63
    .sgpr_spill_count: 0
    .symbol:         _ZL18flash_attn_ext_vecILi64ELi1EL9ggml_type2ELS0_8ELb0EEvPKcS2_S2_S2_S2_PKiPfP15HIP_vector_typeIfLj2EEffffjfiS6_IjLj3EEiiiiiiiiiiiliiliiiiil.kd
    .uniform_work_group_size: 1
    .uses_dynamic_stack: false
    .vgpr_count:     134
    .vgpr_spill_count: 0
    .wavefront_size: 64
  - .args:
      - .actual_access:  read_only
        .address_space:  global
        .offset:         0
        .size:           8
        .value_kind:     global_buffer
      - .actual_access:  write_only
        .address_space:  global
        .offset:         8
        .size:           8
        .value_kind:     global_buffer
      - .offset:         16
        .size:           4
        .value_kind:     by_value
      - .offset:         20
        .size:           4
        .value_kind:     by_value
      - .offset:         24
        .size:           4
        .value_kind:     by_value
      - .offset:         32
        .size:           4
        .value_kind:     hidden_block_count_x
      - .offset:         36
        .size:           4
        .value_kind:     hidden_block_count_y
      - .offset:         40
        .size:           4
        .value_kind:     hidden_block_count_z
      - .offset:         44
        .size:           2
        .value_kind:     hidden_group_size_x
      - .offset:         46
        .size:           2
        .value_kind:     hidden_group_size_y
      - .offset:         48
        .size:           2
        .value_kind:     hidden_group_size_z
      - .offset:         50
        .size:           2
        .value_kind:     hidden_remainder_x
      - .offset:         52
        .size:           2
        .value_kind:     hidden_remainder_y
      - .offset:         54
        .size:           2
        .value_kind:     hidden_remainder_z
      - .offset:         72
        .size:           8
        .value_kind:     hidden_global_offset_x
      - .offset:         80
        .size:           8
        .value_kind:     hidden_global_offset_y
      - .offset:         88
        .size:           8
        .value_kind:     hidden_global_offset_z
      - .offset:         96
        .size:           2
        .value_kind:     hidden_grid_dims
    .group_segment_fixed_size: 128
    .kernarg_segment_align: 8
    .kernarg_segment_size: 288
    .language:       OpenCL C
    .language_version:
      - 2
      - 0
    .max_flat_workgroup_size: 128
    .name:           _ZL25flash_attn_mask_to_KV_maxILi1EEvPK7__half2Piiii
    .private_segment_fixed_size: 0
    .sgpr_count:     22
    .sgpr_spill_count: 0
    .symbol:         _ZL25flash_attn_mask_to_KV_maxILi1EEvPK7__half2Piiii.kd
    .uniform_work_group_size: 1
    .uses_dynamic_stack: false
    .vgpr_count:     17
    .vgpr_spill_count: 0
    .wavefront_size: 64
  - .args:
      - .address_space:  global
        .offset:         0
        .size:           8
        .value_kind:     global_buffer
      - .address_space:  global
        .offset:         8
        .size:           8
        .value_kind:     global_buffer
      - .offset:         16
        .size:           4
        .value_kind:     by_value
      - .offset:         20
        .size:           4
        .value_kind:     by_value
      - .offset:         24
        .size:           4
        .value_kind:     by_value
      - .offset:         28
        .size:           4
        .value_kind:     by_value
      - .offset:         32
        .size:           4
        .value_kind:     by_value
      - .offset:         36
        .size:           4
        .value_kind:     by_value
      - .offset:         40
        .size:           12
        .value_kind:     by_value
      - .offset:         52
        .size:           12
        .value_kind:     by_value
      - .offset:         64
        .size:           12
        .value_kind:     by_value
    .group_segment_fixed_size: 0
    .kernarg_segment_align: 8
    .kernarg_segment_size: 76
    .language:       OpenCL C
    .language_version:
      - 2
      - 0
    .max_flat_workgroup_size: 64
    .name:           _ZL33flash_attn_stream_k_fixup_uniformILi64ELi1ELi1EEvPfPK15HIP_vector_typeIfLj2EEiiiiiiS1_IjLj3EES5_S5_
    .private_segment_fixed_size: 0
    .sgpr_count:     24
    .sgpr_spill_count: 0
    .symbol:         _ZL33flash_attn_stream_k_fixup_uniformILi64ELi1ELi1EEvPfPK15HIP_vector_typeIfLj2EEiiiiiiS1_IjLj3EES5_S5_.kd
    .uniform_work_group_size: 1
    .uses_dynamic_stack: false
    .vgpr_count:     17
    .vgpr_spill_count: 0
    .wavefront_size: 64
  - .args:
      - .address_space:  global
        .offset:         0
        .size:           8
        .value_kind:     global_buffer
      - .address_space:  global
        .offset:         8
        .size:           8
        .value_kind:     global_buffer
      - .offset:         16
        .size:           4
        .value_kind:     by_value
      - .offset:         20
        .size:           4
        .value_kind:     by_value
      - .offset:         24
        .size:           4
        .value_kind:     by_value
      - .offset:         28
        .size:           4
        .value_kind:     by_value
      - .offset:         32
        .size:           12
        .value_kind:     by_value
      - .offset:         44
        .size:           12
        .value_kind:     by_value
      - .offset:         56
        .size:           12
        .value_kind:     by_value
      - .offset:         68
        .size:           12
        .value_kind:     by_value
      - .offset:         80
        .size:           4
        .value_kind:     hidden_block_count_x
      - .offset:         84
        .size:           4
        .value_kind:     hidden_block_count_y
      - .offset:         88
        .size:           4
        .value_kind:     hidden_block_count_z
      - .offset:         92
        .size:           2
        .value_kind:     hidden_group_size_x
      - .offset:         94
        .size:           2
        .value_kind:     hidden_group_size_y
      - .offset:         96
        .size:           2
        .value_kind:     hidden_group_size_z
      - .offset:         98
        .size:           2
        .value_kind:     hidden_remainder_x
      - .offset:         100
        .size:           2
        .value_kind:     hidden_remainder_y
      - .offset:         102
        .size:           2
        .value_kind:     hidden_remainder_z
      - .offset:         120
        .size:           8
        .value_kind:     hidden_global_offset_x
      - .offset:         128
        .size:           8
        .value_kind:     hidden_global_offset_y
      - .offset:         136
        .size:           8
        .value_kind:     hidden_global_offset_z
      - .offset:         144
        .size:           2
        .value_kind:     hidden_grid_dims
    .group_segment_fixed_size: 0
    .kernarg_segment_align: 8
    .kernarg_segment_size: 336
    .language:       OpenCL C
    .language_version:
      - 2
      - 0
    .max_flat_workgroup_size: 64
    .name:           _ZL33flash_attn_stream_k_fixup_generalILi64ELi1ELi1EEvPfPK15HIP_vector_typeIfLj2EEiiiiS1_IjLj3EES5_S5_S5_
    .private_segment_fixed_size: 0
    .sgpr_count:     40
    .sgpr_spill_count: 0
    .symbol:         _ZL33flash_attn_stream_k_fixup_generalILi64ELi1ELi1EEvPfPK15HIP_vector_typeIfLj2EEiiiiS1_IjLj3EES5_S5_S5_.kd
    .uniform_work_group_size: 1
    .uses_dynamic_stack: false
    .vgpr_count:     18
    .vgpr_spill_count: 0
    .wavefront_size: 64
  - .args:
      - .address_space:  global
        .offset:         0
        .size:           8
        .value_kind:     global_buffer
      - .address_space:  global
        .offset:         8
        .size:           8
        .value_kind:     global_buffer
      - .address_space:  global
        .offset:         16
        .size:           8
        .value_kind:     global_buffer
      - .offset:         24
        .size:           4
        .value_kind:     by_value
      - .offset:         32
        .size:           4
        .value_kind:     hidden_block_count_x
      - .offset:         36
        .size:           4
        .value_kind:     hidden_block_count_y
      - .offset:         40
        .size:           4
        .value_kind:     hidden_block_count_z
      - .offset:         44
        .size:           2
        .value_kind:     hidden_group_size_x
      - .offset:         46
        .size:           2
        .value_kind:     hidden_group_size_y
      - .offset:         48
        .size:           2
        .value_kind:     hidden_group_size_z
      - .offset:         50
        .size:           2
        .value_kind:     hidden_remainder_x
      - .offset:         52
        .size:           2
        .value_kind:     hidden_remainder_y
      - .offset:         54
        .size:           2
        .value_kind:     hidden_remainder_z
      - .offset:         72
        .size:           8
        .value_kind:     hidden_global_offset_x
      - .offset:         80
        .size:           8
        .value_kind:     hidden_global_offset_y
      - .offset:         88
        .size:           8
        .value_kind:     hidden_global_offset_z
      - .offset:         96
        .size:           2
        .value_kind:     hidden_grid_dims
      - .offset:         152
        .size:           4
        .value_kind:     hidden_dynamic_lds_size
    .group_segment_fixed_size: 0
    .kernarg_segment_align: 8
    .kernarg_segment_size: 288
    .language:       OpenCL C
    .language_version:
      - 2
      - 0
    .max_flat_workgroup_size: 64
    .name:           _ZL26flash_attn_combine_resultsILi64EEvPKfPK15HIP_vector_typeIfLj2EEPfi
    .private_segment_fixed_size: 0
    .sgpr_count:     20
    .sgpr_spill_count: 0
    .symbol:         _ZL26flash_attn_combine_resultsILi64EEvPKfPK15HIP_vector_typeIfLj2EEPfi.kd
    .uniform_work_group_size: 1
    .uses_dynamic_stack: false
    .vgpr_count:     17
    .vgpr_spill_count: 0
    .wavefront_size: 64
  - .args:
      - .address_space:  global
        .offset:         0
        .size:           8
        .value_kind:     global_buffer
      - .address_space:  global
        .offset:         8
        .size:           8
        .value_kind:     global_buffer
      - .address_space:  global
        .offset:         16
        .size:           8
        .value_kind:     global_buffer
      - .address_space:  global
        .offset:         24
        .size:           8
        .value_kind:     global_buffer
      - .address_space:  global
        .offset:         32
        .size:           8
        .value_kind:     global_buffer
      - .address_space:  global
        .offset:         40
        .size:           8
        .value_kind:     global_buffer
      - .address_space:  global
        .offset:         48
        .size:           8
        .value_kind:     global_buffer
      - .address_space:  global
        .offset:         56
        .size:           8
        .value_kind:     global_buffer
      - .offset:         64
        .size:           4
        .value_kind:     by_value
      - .offset:         68
        .size:           4
        .value_kind:     by_value
      - .offset:         72
        .size:           4
        .value_kind:     by_value
      - .offset:         76
        .size:           4
        .value_kind:     by_value
      - .offset:         80
        .size:           4
        .value_kind:     by_value
      - .offset:         84
        .size:           4
        .value_kind:     by_value
      - .offset:         88
        .size:           4
        .value_kind:     by_value
      - .offset:         92
        .size:           12
        .value_kind:     by_value
      - .offset:         104
        .size:           4
        .value_kind:     by_value
      - .offset:         108
        .size:           4
        .value_kind:     by_value
      - .offset:         112
        .size:           4
        .value_kind:     by_value
      - .offset:         116
        .size:           4
        .value_kind:     by_value
      - .offset:         120
        .size:           4
        .value_kind:     by_value
      - .offset:         124
        .size:           4
        .value_kind:     by_value
      - .offset:         128
        .size:           4
        .value_kind:     by_value
      - .offset:         132
        .size:           4
        .value_kind:     by_value
      - .offset:         136
        .size:           4
        .value_kind:     by_value
      - .offset:         140
        .size:           4
        .value_kind:     by_value
      - .offset:         144
        .size:           4
        .value_kind:     by_value
      - .offset:         152
        .size:           8
        .value_kind:     by_value
      - .offset:         160
        .size:           4
        .value_kind:     by_value
      - .offset:         164
        .size:           4
        .value_kind:     by_value
      - .offset:         168
        .size:           8
        .value_kind:     by_value
      - .offset:         176
        .size:           4
        .value_kind:     by_value
      - .offset:         180
        .size:           4
        .value_kind:     by_value
      - .offset:         184
        .size:           4
        .value_kind:     by_value
      - .offset:         188
        .size:           4
        .value_kind:     by_value
      - .offset:         192
        .size:           4
        .value_kind:     by_value
      - .offset:         200
        .size:           8
        .value_kind:     by_value
      - .offset:         208
        .size:           4
        .value_kind:     hidden_block_count_x
      - .offset:         212
        .size:           4
        .value_kind:     hidden_block_count_y
      - .offset:         216
        .size:           4
        .value_kind:     hidden_block_count_z
      - .offset:         220
        .size:           2
        .value_kind:     hidden_group_size_x
      - .offset:         222
        .size:           2
        .value_kind:     hidden_group_size_y
      - .offset:         224
        .size:           2
        .value_kind:     hidden_group_size_z
      - .offset:         226
        .size:           2
        .value_kind:     hidden_remainder_x
      - .offset:         228
        .size:           2
        .value_kind:     hidden_remainder_y
      - .offset:         230
        .size:           2
        .value_kind:     hidden_remainder_z
      - .offset:         248
        .size:           8
        .value_kind:     hidden_global_offset_x
      - .offset:         256
        .size:           8
        .value_kind:     hidden_global_offset_y
      - .offset:         264
        .size:           8
        .value_kind:     hidden_global_offset_z
      - .offset:         272
        .size:           2
        .value_kind:     hidden_grid_dims
      - .offset:         288
        .size:           8
        .value_kind:     hidden_hostcall_buffer
    .group_segment_fixed_size: 0
    .kernarg_segment_align: 8
    .kernarg_segment_size: 464
    .language:       OpenCL C
    .language_version:
      - 2
      - 0
    .max_flat_workgroup_size: 128
    .name:           _ZL18flash_attn_ext_vecILi64ELi1EL9ggml_type2ELS0_8ELb1EEvPKcS2_S2_S2_S2_PKiPfP15HIP_vector_typeIfLj2EEffffjfiS6_IjLj3EEiiiiiiiiiiiliiliiiiil
    .private_segment_fixed_size: 16
    .sgpr_count:     38
    .sgpr_spill_count: 0
    .symbol:         _ZL18flash_attn_ext_vecILi64ELi1EL9ggml_type2ELS0_8ELb1EEvPKcS2_S2_S2_S2_PKiPfP15HIP_vector_typeIfLj2EEffffjfiS6_IjLj3EEiiiiiiiiiiiliiliiiiil.kd
    .uniform_work_group_size: 1
    .uses_dynamic_stack: false
    .vgpr_count:     41
    .vgpr_spill_count: 0
    .wavefront_size: 64
  - .args:
      - .address_space:  global
        .offset:         0
        .size:           8
        .value_kind:     global_buffer
      - .address_space:  global
        .offset:         8
        .size:           8
        .value_kind:     global_buffer
      - .address_space:  global
        .offset:         16
        .size:           8
        .value_kind:     global_buffer
      - .address_space:  global
        .offset:         24
        .size:           8
        .value_kind:     global_buffer
      - .address_space:  global
        .offset:         32
        .size:           8
        .value_kind:     global_buffer
      - .address_space:  global
        .offset:         40
        .size:           8
        .value_kind:     global_buffer
      - .address_space:  global
        .offset:         48
        .size:           8
        .value_kind:     global_buffer
      - .address_space:  global
        .offset:         56
        .size:           8
        .value_kind:     global_buffer
      - .offset:         64
        .size:           4
        .value_kind:     by_value
      - .offset:         68
        .size:           4
        .value_kind:     by_value
      - .offset:         72
        .size:           4
        .value_kind:     by_value
      - .offset:         76
        .size:           4
        .value_kind:     by_value
      - .offset:         80
        .size:           4
        .value_kind:     by_value
      - .offset:         84
        .size:           4
        .value_kind:     by_value
      - .offset:         88
        .size:           4
        .value_kind:     by_value
      - .offset:         92
        .size:           12
        .value_kind:     by_value
      - .offset:         104
        .size:           4
        .value_kind:     by_value
      - .offset:         108
        .size:           4
        .value_kind:     by_value
      - .offset:         112
        .size:           4
        .value_kind:     by_value
      - .offset:         116
        .size:           4
        .value_kind:     by_value
      - .offset:         120
        .size:           4
        .value_kind:     by_value
      - .offset:         124
        .size:           4
        .value_kind:     by_value
      - .offset:         128
        .size:           4
        .value_kind:     by_value
      - .offset:         132
        .size:           4
        .value_kind:     by_value
      - .offset:         136
        .size:           4
        .value_kind:     by_value
      - .offset:         140
        .size:           4
        .value_kind:     by_value
      - .offset:         144
        .size:           4
        .value_kind:     by_value
      - .offset:         152
        .size:           8
        .value_kind:     by_value
      - .offset:         160
        .size:           4
        .value_kind:     by_value
      - .offset:         164
        .size:           4
        .value_kind:     by_value
      - .offset:         168
        .size:           8
        .value_kind:     by_value
      - .offset:         176
        .size:           4
        .value_kind:     by_value
      - .offset:         180
        .size:           4
        .value_kind:     by_value
      - .offset:         184
        .size:           4
        .value_kind:     by_value
      - .offset:         188
        .size:           4
        .value_kind:     by_value
      - .offset:         192
        .size:           4
        .value_kind:     by_value
      - .offset:         200
        .size:           8
        .value_kind:     by_value
      - .offset:         208
        .size:           4
        .value_kind:     hidden_block_count_x
      - .offset:         212
        .size:           4
        .value_kind:     hidden_block_count_y
      - .offset:         216
        .size:           4
        .value_kind:     hidden_block_count_z
      - .offset:         220
        .size:           2
        .value_kind:     hidden_group_size_x
      - .offset:         222
        .size:           2
        .value_kind:     hidden_group_size_y
      - .offset:         224
        .size:           2
        .value_kind:     hidden_group_size_z
      - .offset:         226
        .size:           2
        .value_kind:     hidden_remainder_x
      - .offset:         228
        .size:           2
        .value_kind:     hidden_remainder_y
      - .offset:         230
        .size:           2
        .value_kind:     hidden_remainder_z
      - .offset:         248
        .size:           8
        .value_kind:     hidden_global_offset_x
      - .offset:         256
        .size:           8
        .value_kind:     hidden_global_offset_y
      - .offset:         264
        .size:           8
        .value_kind:     hidden_global_offset_z
      - .offset:         272
        .size:           2
        .value_kind:     hidden_grid_dims
    .group_segment_fixed_size: 1536
    .kernarg_segment_align: 8
    .kernarg_segment_size: 464
    .language:       OpenCL C
    .language_version:
      - 2
      - 0
    .max_flat_workgroup_size: 128
    .name:           _ZL18flash_attn_ext_vecILi64ELi2EL9ggml_type2ELS0_8ELb0EEvPKcS2_S2_S2_S2_PKiPfP15HIP_vector_typeIfLj2EEffffjfiS6_IjLj3EEiiiiiiiiiiiliiliiiiil
    .private_segment_fixed_size: 32
    .sgpr_count:     68
    .sgpr_spill_count: 0
    .symbol:         _ZL18flash_attn_ext_vecILi64ELi2EL9ggml_type2ELS0_8ELb0EEvPKcS2_S2_S2_S2_PKiPfP15HIP_vector_typeIfLj2EEffffjfiS6_IjLj3EEiiiiiiiiiiiliiliiiiil.kd
    .uniform_work_group_size: 1
    .uses_dynamic_stack: false
    .vgpr_count:     160
    .vgpr_spill_count: 0
    .wavefront_size: 64
  - .args:
      - .actual_access:  read_only
        .address_space:  global
        .offset:         0
        .size:           8
        .value_kind:     global_buffer
      - .actual_access:  write_only
        .address_space:  global
        .offset:         8
        .size:           8
        .value_kind:     global_buffer
      - .offset:         16
        .size:           4
        .value_kind:     by_value
      - .offset:         20
        .size:           4
        .value_kind:     by_value
      - .offset:         24
        .size:           4
        .value_kind:     by_value
      - .offset:         32
        .size:           4
        .value_kind:     hidden_block_count_x
      - .offset:         36
        .size:           4
        .value_kind:     hidden_block_count_y
      - .offset:         40
        .size:           4
        .value_kind:     hidden_block_count_z
      - .offset:         44
        .size:           2
        .value_kind:     hidden_group_size_x
      - .offset:         46
        .size:           2
        .value_kind:     hidden_group_size_y
      - .offset:         48
        .size:           2
        .value_kind:     hidden_group_size_z
      - .offset:         50
        .size:           2
        .value_kind:     hidden_remainder_x
      - .offset:         52
        .size:           2
        .value_kind:     hidden_remainder_y
      - .offset:         54
        .size:           2
        .value_kind:     hidden_remainder_z
      - .offset:         72
        .size:           8
        .value_kind:     hidden_global_offset_x
      - .offset:         80
        .size:           8
        .value_kind:     hidden_global_offset_y
      - .offset:         88
        .size:           8
        .value_kind:     hidden_global_offset_z
      - .offset:         96
        .size:           2
        .value_kind:     hidden_grid_dims
    .group_segment_fixed_size: 128
    .kernarg_segment_align: 8
    .kernarg_segment_size: 288
    .language:       OpenCL C
    .language_version:
      - 2
      - 0
    .max_flat_workgroup_size: 128
    .name:           _ZL25flash_attn_mask_to_KV_maxILi2EEvPK7__half2Piiii
    .private_segment_fixed_size: 0
    .sgpr_count:     26
    .sgpr_spill_count: 0
    .symbol:         _ZL25flash_attn_mask_to_KV_maxILi2EEvPK7__half2Piiii.kd
    .uniform_work_group_size: 1
    .uses_dynamic_stack: false
    .vgpr_count:     17
    .vgpr_spill_count: 0
    .wavefront_size: 64
  - .args:
      - .address_space:  global
        .offset:         0
        .size:           8
        .value_kind:     global_buffer
      - .address_space:  global
        .offset:         8
        .size:           8
        .value_kind:     global_buffer
      - .offset:         16
        .size:           4
        .value_kind:     by_value
      - .offset:         20
        .size:           4
        .value_kind:     by_value
      - .offset:         24
        .size:           4
        .value_kind:     by_value
      - .offset:         28
        .size:           4
        .value_kind:     by_value
      - .offset:         32
        .size:           4
        .value_kind:     by_value
      - .offset:         36
        .size:           4
        .value_kind:     by_value
      - .offset:         40
        .size:           12
        .value_kind:     by_value
      - .offset:         52
        .size:           12
        .value_kind:     by_value
      - .offset:         64
        .size:           12
        .value_kind:     by_value
    .group_segment_fixed_size: 0
    .kernarg_segment_align: 8
    .kernarg_segment_size: 76
    .language:       OpenCL C
    .language_version:
      - 2
      - 0
    .max_flat_workgroup_size: 64
    .name:           _ZL33flash_attn_stream_k_fixup_uniformILi64ELi2ELi1EEvPfPK15HIP_vector_typeIfLj2EEiiiiiiS1_IjLj3EES5_S5_
    .private_segment_fixed_size: 0
    .sgpr_count:     24
    .sgpr_spill_count: 0
    .symbol:         _ZL33flash_attn_stream_k_fixup_uniformILi64ELi2ELi1EEvPfPK15HIP_vector_typeIfLj2EEiiiiiiS1_IjLj3EES5_S5_.kd
    .uniform_work_group_size: 1
    .uses_dynamic_stack: false
    .vgpr_count:     17
    .vgpr_spill_count: 0
    .wavefront_size: 64
  - .args:
      - .address_space:  global
        .offset:         0
        .size:           8
        .value_kind:     global_buffer
      - .address_space:  global
        .offset:         8
        .size:           8
        .value_kind:     global_buffer
      - .offset:         16
        .size:           4
        .value_kind:     by_value
      - .offset:         20
        .size:           4
        .value_kind:     by_value
      - .offset:         24
        .size:           4
        .value_kind:     by_value
      - .offset:         28
        .size:           4
        .value_kind:     by_value
      - .offset:         32
        .size:           12
        .value_kind:     by_value
      - .offset:         44
        .size:           12
        .value_kind:     by_value
      - .offset:         56
        .size:           12
        .value_kind:     by_value
      - .offset:         68
        .size:           12
        .value_kind:     by_value
      - .offset:         80
        .size:           4
        .value_kind:     hidden_block_count_x
      - .offset:         84
        .size:           4
        .value_kind:     hidden_block_count_y
      - .offset:         88
        .size:           4
        .value_kind:     hidden_block_count_z
      - .offset:         92
        .size:           2
        .value_kind:     hidden_group_size_x
      - .offset:         94
        .size:           2
        .value_kind:     hidden_group_size_y
      - .offset:         96
        .size:           2
        .value_kind:     hidden_group_size_z
      - .offset:         98
        .size:           2
        .value_kind:     hidden_remainder_x
      - .offset:         100
        .size:           2
        .value_kind:     hidden_remainder_y
      - .offset:         102
        .size:           2
        .value_kind:     hidden_remainder_z
      - .offset:         120
        .size:           8
        .value_kind:     hidden_global_offset_x
      - .offset:         128
        .size:           8
        .value_kind:     hidden_global_offset_y
      - .offset:         136
        .size:           8
        .value_kind:     hidden_global_offset_z
      - .offset:         144
        .size:           2
        .value_kind:     hidden_grid_dims
    .group_segment_fixed_size: 0
    .kernarg_segment_align: 8
    .kernarg_segment_size: 336
    .language:       OpenCL C
    .language_version:
      - 2
      - 0
    .max_flat_workgroup_size: 64
    .name:           _ZL33flash_attn_stream_k_fixup_generalILi64ELi2ELi1EEvPfPK15HIP_vector_typeIfLj2EEiiiiS1_IjLj3EES5_S5_S5_
    .private_segment_fixed_size: 0
    .sgpr_count:     40
    .sgpr_spill_count: 0
    .symbol:         _ZL33flash_attn_stream_k_fixup_generalILi64ELi2ELi1EEvPfPK15HIP_vector_typeIfLj2EEiiiiS1_IjLj3EES5_S5_S5_.kd
    .uniform_work_group_size: 1
    .uses_dynamic_stack: false
    .vgpr_count:     18
    .vgpr_spill_count: 0
    .wavefront_size: 64
  - .args:
      - .address_space:  global
        .offset:         0
        .size:           8
        .value_kind:     global_buffer
      - .address_space:  global
        .offset:         8
        .size:           8
        .value_kind:     global_buffer
      - .address_space:  global
        .offset:         16
        .size:           8
        .value_kind:     global_buffer
      - .address_space:  global
        .offset:         24
        .size:           8
        .value_kind:     global_buffer
      - .address_space:  global
        .offset:         32
        .size:           8
        .value_kind:     global_buffer
      - .address_space:  global
        .offset:         40
        .size:           8
        .value_kind:     global_buffer
      - .address_space:  global
        .offset:         48
        .size:           8
        .value_kind:     global_buffer
      - .address_space:  global
        .offset:         56
        .size:           8
        .value_kind:     global_buffer
      - .offset:         64
        .size:           4
        .value_kind:     by_value
      - .offset:         68
        .size:           4
        .value_kind:     by_value
      - .offset:         72
        .size:           4
        .value_kind:     by_value
      - .offset:         76
        .size:           4
        .value_kind:     by_value
      - .offset:         80
        .size:           4
        .value_kind:     by_value
      - .offset:         84
        .size:           4
        .value_kind:     by_value
      - .offset:         88
        .size:           4
        .value_kind:     by_value
      - .offset:         92
        .size:           12
        .value_kind:     by_value
      - .offset:         104
        .size:           4
        .value_kind:     by_value
      - .offset:         108
        .size:           4
        .value_kind:     by_value
      - .offset:         112
        .size:           4
        .value_kind:     by_value
      - .offset:         116
        .size:           4
        .value_kind:     by_value
      - .offset:         120
        .size:           4
        .value_kind:     by_value
      - .offset:         124
        .size:           4
        .value_kind:     by_value
      - .offset:         128
        .size:           4
        .value_kind:     by_value
      - .offset:         132
        .size:           4
        .value_kind:     by_value
      - .offset:         136
        .size:           4
        .value_kind:     by_value
      - .offset:         140
        .size:           4
        .value_kind:     by_value
      - .offset:         144
        .size:           4
        .value_kind:     by_value
      - .offset:         152
        .size:           8
        .value_kind:     by_value
      - .offset:         160
        .size:           4
        .value_kind:     by_value
      - .offset:         164
        .size:           4
        .value_kind:     by_value
      - .offset:         168
        .size:           8
        .value_kind:     by_value
      - .offset:         176
        .size:           4
        .value_kind:     by_value
      - .offset:         180
        .size:           4
        .value_kind:     by_value
      - .offset:         184
        .size:           4
        .value_kind:     by_value
      - .offset:         188
        .size:           4
        .value_kind:     by_value
      - .offset:         192
        .size:           4
        .value_kind:     by_value
      - .offset:         200
        .size:           8
        .value_kind:     by_value
      - .offset:         208
        .size:           4
        .value_kind:     hidden_block_count_x
      - .offset:         212
        .size:           4
        .value_kind:     hidden_block_count_y
      - .offset:         216
        .size:           4
        .value_kind:     hidden_block_count_z
      - .offset:         220
        .size:           2
        .value_kind:     hidden_group_size_x
      - .offset:         222
        .size:           2
        .value_kind:     hidden_group_size_y
      - .offset:         224
        .size:           2
        .value_kind:     hidden_group_size_z
      - .offset:         226
        .size:           2
        .value_kind:     hidden_remainder_x
      - .offset:         228
        .size:           2
        .value_kind:     hidden_remainder_y
      - .offset:         230
        .size:           2
        .value_kind:     hidden_remainder_z
      - .offset:         248
        .size:           8
        .value_kind:     hidden_global_offset_x
      - .offset:         256
        .size:           8
        .value_kind:     hidden_global_offset_y
      - .offset:         264
        .size:           8
        .value_kind:     hidden_global_offset_z
      - .offset:         272
        .size:           2
        .value_kind:     hidden_grid_dims
      - .offset:         288
        .size:           8
        .value_kind:     hidden_hostcall_buffer
    .group_segment_fixed_size: 0
    .kernarg_segment_align: 8
    .kernarg_segment_size: 464
    .language:       OpenCL C
    .language_version:
      - 2
      - 0
    .max_flat_workgroup_size: 128
    .name:           _ZL18flash_attn_ext_vecILi64ELi2EL9ggml_type2ELS0_8ELb1EEvPKcS2_S2_S2_S2_PKiPfP15HIP_vector_typeIfLj2EEffffjfiS6_IjLj3EEiiiiiiiiiiiliiliiiiil
    .private_segment_fixed_size: 16
    .sgpr_count:     38
    .sgpr_spill_count: 0
    .symbol:         _ZL18flash_attn_ext_vecILi64ELi2EL9ggml_type2ELS0_8ELb1EEvPKcS2_S2_S2_S2_PKiPfP15HIP_vector_typeIfLj2EEffffjfiS6_IjLj3EEiiiiiiiiiiiliiliiiiil.kd
    .uniform_work_group_size: 1
    .uses_dynamic_stack: false
    .vgpr_count:     41
    .vgpr_spill_count: 0
    .wavefront_size: 64
  - .args:
      - .address_space:  global
        .offset:         0
        .size:           8
        .value_kind:     global_buffer
      - .address_space:  global
        .offset:         8
        .size:           8
        .value_kind:     global_buffer
      - .address_space:  global
        .offset:         16
        .size:           8
        .value_kind:     global_buffer
      - .address_space:  global
        .offset:         24
        .size:           8
        .value_kind:     global_buffer
      - .address_space:  global
        .offset:         32
        .size:           8
        .value_kind:     global_buffer
      - .address_space:  global
        .offset:         40
        .size:           8
        .value_kind:     global_buffer
      - .address_space:  global
        .offset:         48
        .size:           8
        .value_kind:     global_buffer
      - .address_space:  global
        .offset:         56
        .size:           8
        .value_kind:     global_buffer
      - .offset:         64
        .size:           4
        .value_kind:     by_value
      - .offset:         68
        .size:           4
        .value_kind:     by_value
      - .offset:         72
        .size:           4
        .value_kind:     by_value
      - .offset:         76
        .size:           4
        .value_kind:     by_value
      - .offset:         80
        .size:           4
        .value_kind:     by_value
      - .offset:         84
        .size:           4
        .value_kind:     by_value
      - .offset:         88
        .size:           4
        .value_kind:     by_value
      - .offset:         92
        .size:           12
        .value_kind:     by_value
      - .offset:         104
        .size:           4
        .value_kind:     by_value
      - .offset:         108
        .size:           4
        .value_kind:     by_value
      - .offset:         112
        .size:           4
        .value_kind:     by_value
      - .offset:         116
        .size:           4
        .value_kind:     by_value
      - .offset:         120
        .size:           4
        .value_kind:     by_value
      - .offset:         124
        .size:           4
        .value_kind:     by_value
      - .offset:         128
        .size:           4
        .value_kind:     by_value
      - .offset:         132
        .size:           4
        .value_kind:     by_value
      - .offset:         136
        .size:           4
        .value_kind:     by_value
      - .offset:         140
        .size:           4
        .value_kind:     by_value
      - .offset:         144
        .size:           4
        .value_kind:     by_value
      - .offset:         152
        .size:           8
        .value_kind:     by_value
      - .offset:         160
        .size:           4
        .value_kind:     by_value
      - .offset:         164
        .size:           4
        .value_kind:     by_value
      - .offset:         168
        .size:           8
        .value_kind:     by_value
      - .offset:         176
        .size:           4
        .value_kind:     by_value
      - .offset:         180
        .size:           4
        .value_kind:     by_value
      - .offset:         184
        .size:           4
        .value_kind:     by_value
      - .offset:         188
        .size:           4
        .value_kind:     by_value
      - .offset:         192
        .size:           4
        .value_kind:     by_value
      - .offset:         200
        .size:           8
        .value_kind:     by_value
      - .offset:         208
        .size:           4
        .value_kind:     hidden_block_count_x
      - .offset:         212
        .size:           4
        .value_kind:     hidden_block_count_y
      - .offset:         216
        .size:           4
        .value_kind:     hidden_block_count_z
      - .offset:         220
        .size:           2
        .value_kind:     hidden_group_size_x
      - .offset:         222
        .size:           2
        .value_kind:     hidden_group_size_y
      - .offset:         224
        .size:           2
        .value_kind:     hidden_group_size_z
      - .offset:         226
        .size:           2
        .value_kind:     hidden_remainder_x
      - .offset:         228
        .size:           2
        .value_kind:     hidden_remainder_y
      - .offset:         230
        .size:           2
        .value_kind:     hidden_remainder_z
      - .offset:         248
        .size:           8
        .value_kind:     hidden_global_offset_x
      - .offset:         256
        .size:           8
        .value_kind:     hidden_global_offset_y
      - .offset:         264
        .size:           8
        .value_kind:     hidden_global_offset_z
      - .offset:         272
        .size:           2
        .value_kind:     hidden_grid_dims
    .group_segment_fixed_size: 1280
    .kernarg_segment_align: 8
    .kernarg_segment_size: 464
    .language:       OpenCL C
    .language_version:
      - 2
      - 0
    .max_flat_workgroup_size: 128
    .name:           _ZL18flash_attn_ext_vecILi128ELi1EL9ggml_type2ELS0_8ELb0EEvPKcS2_S2_S2_S2_PKiPfP15HIP_vector_typeIfLj2EEffffjfiS6_IjLj3EEiiiiiiiiiiiliiliiiiil
    .private_segment_fixed_size: 0
    .sgpr_count:     62
    .sgpr_spill_count: 0
    .symbol:         _ZL18flash_attn_ext_vecILi128ELi1EL9ggml_type2ELS0_8ELb0EEvPKcS2_S2_S2_S2_PKiPfP15HIP_vector_typeIfLj2EEffffjfiS6_IjLj3EEiiiiiiiiiiiliiliiiiil.kd
    .uniform_work_group_size: 1
    .uses_dynamic_stack: false
    .vgpr_count:     210
    .vgpr_spill_count: 0
    .wavefront_size: 64
  - .args:
      - .address_space:  global
        .offset:         0
        .size:           8
        .value_kind:     global_buffer
      - .address_space:  global
        .offset:         8
        .size:           8
        .value_kind:     global_buffer
      - .offset:         16
        .size:           4
        .value_kind:     by_value
      - .offset:         20
        .size:           4
        .value_kind:     by_value
      - .offset:         24
        .size:           4
        .value_kind:     by_value
      - .offset:         28
        .size:           4
        .value_kind:     by_value
      - .offset:         32
        .size:           4
        .value_kind:     by_value
      - .offset:         36
        .size:           4
        .value_kind:     by_value
      - .offset:         40
        .size:           12
        .value_kind:     by_value
      - .offset:         52
        .size:           12
        .value_kind:     by_value
      - .offset:         64
        .size:           12
        .value_kind:     by_value
    .group_segment_fixed_size: 0
    .kernarg_segment_align: 8
    .kernarg_segment_size: 76
    .language:       OpenCL C
    .language_version:
      - 2
      - 0
    .max_flat_workgroup_size: 128
    .name:           _ZL33flash_attn_stream_k_fixup_uniformILi128ELi1ELi1EEvPfPK15HIP_vector_typeIfLj2EEiiiiiiS1_IjLj3EES5_S5_
    .private_segment_fixed_size: 0
    .sgpr_count:     24
    .sgpr_spill_count: 0
    .symbol:         _ZL33flash_attn_stream_k_fixup_uniformILi128ELi1ELi1EEvPfPK15HIP_vector_typeIfLj2EEiiiiiiS1_IjLj3EES5_S5_.kd
    .uniform_work_group_size: 1
    .uses_dynamic_stack: false
    .vgpr_count:     17
    .vgpr_spill_count: 0
    .wavefront_size: 64
  - .args:
      - .address_space:  global
        .offset:         0
        .size:           8
        .value_kind:     global_buffer
      - .address_space:  global
        .offset:         8
        .size:           8
        .value_kind:     global_buffer
      - .offset:         16
        .size:           4
        .value_kind:     by_value
      - .offset:         20
        .size:           4
        .value_kind:     by_value
      - .offset:         24
        .size:           4
        .value_kind:     by_value
      - .offset:         28
        .size:           4
        .value_kind:     by_value
      - .offset:         32
        .size:           12
        .value_kind:     by_value
      - .offset:         44
        .size:           12
        .value_kind:     by_value
      - .offset:         56
        .size:           12
        .value_kind:     by_value
      - .offset:         68
        .size:           12
        .value_kind:     by_value
      - .offset:         80
        .size:           4
        .value_kind:     hidden_block_count_x
      - .offset:         84
        .size:           4
        .value_kind:     hidden_block_count_y
      - .offset:         88
        .size:           4
        .value_kind:     hidden_block_count_z
      - .offset:         92
        .size:           2
        .value_kind:     hidden_group_size_x
      - .offset:         94
        .size:           2
        .value_kind:     hidden_group_size_y
      - .offset:         96
        .size:           2
        .value_kind:     hidden_group_size_z
      - .offset:         98
        .size:           2
        .value_kind:     hidden_remainder_x
      - .offset:         100
        .size:           2
        .value_kind:     hidden_remainder_y
      - .offset:         102
        .size:           2
        .value_kind:     hidden_remainder_z
      - .offset:         120
        .size:           8
        .value_kind:     hidden_global_offset_x
      - .offset:         128
        .size:           8
        .value_kind:     hidden_global_offset_y
      - .offset:         136
        .size:           8
        .value_kind:     hidden_global_offset_z
      - .offset:         144
        .size:           2
        .value_kind:     hidden_grid_dims
    .group_segment_fixed_size: 0
    .kernarg_segment_align: 8
    .kernarg_segment_size: 336
    .language:       OpenCL C
    .language_version:
      - 2
      - 0
    .max_flat_workgroup_size: 128
    .name:           _ZL33flash_attn_stream_k_fixup_generalILi128ELi1ELi1EEvPfPK15HIP_vector_typeIfLj2EEiiiiS1_IjLj3EES5_S5_S5_
    .private_segment_fixed_size: 0
    .sgpr_count:     40
    .sgpr_spill_count: 0
    .symbol:         _ZL33flash_attn_stream_k_fixup_generalILi128ELi1ELi1EEvPfPK15HIP_vector_typeIfLj2EEiiiiS1_IjLj3EES5_S5_S5_.kd
    .uniform_work_group_size: 1
    .uses_dynamic_stack: false
    .vgpr_count:     18
    .vgpr_spill_count: 0
    .wavefront_size: 64
  - .args:
      - .address_space:  global
        .offset:         0
        .size:           8
        .value_kind:     global_buffer
      - .address_space:  global
        .offset:         8
        .size:           8
        .value_kind:     global_buffer
      - .address_space:  global
        .offset:         16
        .size:           8
        .value_kind:     global_buffer
      - .offset:         24
        .size:           4
        .value_kind:     by_value
      - .offset:         32
        .size:           4
        .value_kind:     hidden_block_count_x
      - .offset:         36
        .size:           4
        .value_kind:     hidden_block_count_y
      - .offset:         40
        .size:           4
        .value_kind:     hidden_block_count_z
      - .offset:         44
        .size:           2
        .value_kind:     hidden_group_size_x
      - .offset:         46
        .size:           2
        .value_kind:     hidden_group_size_y
      - .offset:         48
        .size:           2
        .value_kind:     hidden_group_size_z
      - .offset:         50
        .size:           2
        .value_kind:     hidden_remainder_x
      - .offset:         52
        .size:           2
        .value_kind:     hidden_remainder_y
      - .offset:         54
        .size:           2
        .value_kind:     hidden_remainder_z
      - .offset:         72
        .size:           8
        .value_kind:     hidden_global_offset_x
      - .offset:         80
        .size:           8
        .value_kind:     hidden_global_offset_y
      - .offset:         88
        .size:           8
        .value_kind:     hidden_global_offset_z
      - .offset:         96
        .size:           2
        .value_kind:     hidden_grid_dims
      - .offset:         152
        .size:           4
        .value_kind:     hidden_dynamic_lds_size
    .group_segment_fixed_size: 0
    .kernarg_segment_align: 8
    .kernarg_segment_size: 288
    .language:       OpenCL C
    .language_version:
      - 2
      - 0
    .max_flat_workgroup_size: 128
    .name:           _ZL26flash_attn_combine_resultsILi128EEvPKfPK15HIP_vector_typeIfLj2EEPfi
    .private_segment_fixed_size: 0
    .sgpr_count:     20
    .sgpr_spill_count: 0
    .symbol:         _ZL26flash_attn_combine_resultsILi128EEvPKfPK15HIP_vector_typeIfLj2EEPfi.kd
    .uniform_work_group_size: 1
    .uses_dynamic_stack: false
    .vgpr_count:     17
    .vgpr_spill_count: 0
    .wavefront_size: 64
  - .args:
      - .address_space:  global
        .offset:         0
        .size:           8
        .value_kind:     global_buffer
      - .address_space:  global
        .offset:         8
        .size:           8
        .value_kind:     global_buffer
      - .address_space:  global
        .offset:         16
        .size:           8
        .value_kind:     global_buffer
      - .address_space:  global
        .offset:         24
        .size:           8
        .value_kind:     global_buffer
      - .address_space:  global
        .offset:         32
        .size:           8
        .value_kind:     global_buffer
      - .address_space:  global
        .offset:         40
        .size:           8
        .value_kind:     global_buffer
      - .address_space:  global
        .offset:         48
        .size:           8
        .value_kind:     global_buffer
      - .address_space:  global
        .offset:         56
        .size:           8
        .value_kind:     global_buffer
      - .offset:         64
        .size:           4
        .value_kind:     by_value
      - .offset:         68
        .size:           4
        .value_kind:     by_value
      - .offset:         72
        .size:           4
        .value_kind:     by_value
      - .offset:         76
        .size:           4
        .value_kind:     by_value
      - .offset:         80
        .size:           4
        .value_kind:     by_value
      - .offset:         84
        .size:           4
        .value_kind:     by_value
      - .offset:         88
        .size:           4
        .value_kind:     by_value
      - .offset:         92
        .size:           12
        .value_kind:     by_value
      - .offset:         104
        .size:           4
        .value_kind:     by_value
      - .offset:         108
        .size:           4
        .value_kind:     by_value
      - .offset:         112
        .size:           4
        .value_kind:     by_value
      - .offset:         116
        .size:           4
        .value_kind:     by_value
      - .offset:         120
        .size:           4
        .value_kind:     by_value
      - .offset:         124
        .size:           4
        .value_kind:     by_value
      - .offset:         128
        .size:           4
        .value_kind:     by_value
      - .offset:         132
        .size:           4
        .value_kind:     by_value
      - .offset:         136
        .size:           4
        .value_kind:     by_value
      - .offset:         140
        .size:           4
        .value_kind:     by_value
      - .offset:         144
        .size:           4
        .value_kind:     by_value
      - .offset:         152
        .size:           8
        .value_kind:     by_value
      - .offset:         160
        .size:           4
        .value_kind:     by_value
      - .offset:         164
        .size:           4
        .value_kind:     by_value
      - .offset:         168
        .size:           8
        .value_kind:     by_value
      - .offset:         176
        .size:           4
        .value_kind:     by_value
      - .offset:         180
        .size:           4
        .value_kind:     by_value
      - .offset:         184
        .size:           4
        .value_kind:     by_value
      - .offset:         188
        .size:           4
        .value_kind:     by_value
      - .offset:         192
        .size:           4
        .value_kind:     by_value
      - .offset:         200
        .size:           8
        .value_kind:     by_value
      - .offset:         208
        .size:           4
        .value_kind:     hidden_block_count_x
      - .offset:         212
        .size:           4
        .value_kind:     hidden_block_count_y
      - .offset:         216
        .size:           4
        .value_kind:     hidden_block_count_z
      - .offset:         220
        .size:           2
        .value_kind:     hidden_group_size_x
      - .offset:         222
        .size:           2
        .value_kind:     hidden_group_size_y
      - .offset:         224
        .size:           2
        .value_kind:     hidden_group_size_z
      - .offset:         226
        .size:           2
        .value_kind:     hidden_remainder_x
      - .offset:         228
        .size:           2
        .value_kind:     hidden_remainder_y
      - .offset:         230
        .size:           2
        .value_kind:     hidden_remainder_z
      - .offset:         248
        .size:           8
        .value_kind:     hidden_global_offset_x
      - .offset:         256
        .size:           8
        .value_kind:     hidden_global_offset_y
      - .offset:         264
        .size:           8
        .value_kind:     hidden_global_offset_z
      - .offset:         272
        .size:           2
        .value_kind:     hidden_grid_dims
    .group_segment_fixed_size: 1280
    .kernarg_segment_align: 8
    .kernarg_segment_size: 464
    .language:       OpenCL C
    .language_version:
      - 2
      - 0
    .max_flat_workgroup_size: 128
    .name:           _ZL18flash_attn_ext_vecILi128ELi1EL9ggml_type2ELS0_8ELb1EEvPKcS2_S2_S2_S2_PKiPfP15HIP_vector_typeIfLj2EEffffjfiS6_IjLj3EEiiiiiiiiiiiliiliiiiil
    .private_segment_fixed_size: 0
    .sgpr_count:     63
    .sgpr_spill_count: 0
    .symbol:         _ZL18flash_attn_ext_vecILi128ELi1EL9ggml_type2ELS0_8ELb1EEvPKcS2_S2_S2_S2_PKiPfP15HIP_vector_typeIfLj2EEffffjfiS6_IjLj3EEiiiiiiiiiiiliiliiiiil.kd
    .uniform_work_group_size: 1
    .uses_dynamic_stack: false
    .vgpr_count:     213
    .vgpr_spill_count: 0
    .wavefront_size: 64
  - .args:
      - .address_space:  global
        .offset:         0
        .size:           8
        .value_kind:     global_buffer
      - .address_space:  global
        .offset:         8
        .size:           8
        .value_kind:     global_buffer
      - .address_space:  global
        .offset:         16
        .size:           8
        .value_kind:     global_buffer
      - .address_space:  global
        .offset:         24
        .size:           8
        .value_kind:     global_buffer
      - .address_space:  global
        .offset:         32
        .size:           8
        .value_kind:     global_buffer
      - .address_space:  global
        .offset:         40
        .size:           8
        .value_kind:     global_buffer
      - .address_space:  global
        .offset:         48
        .size:           8
        .value_kind:     global_buffer
      - .address_space:  global
        .offset:         56
        .size:           8
        .value_kind:     global_buffer
      - .offset:         64
        .size:           4
        .value_kind:     by_value
      - .offset:         68
        .size:           4
        .value_kind:     by_value
      - .offset:         72
        .size:           4
        .value_kind:     by_value
      - .offset:         76
        .size:           4
        .value_kind:     by_value
      - .offset:         80
        .size:           4
        .value_kind:     by_value
      - .offset:         84
        .size:           4
        .value_kind:     by_value
      - .offset:         88
        .size:           4
        .value_kind:     by_value
      - .offset:         92
        .size:           12
        .value_kind:     by_value
      - .offset:         104
        .size:           4
        .value_kind:     by_value
      - .offset:         108
        .size:           4
        .value_kind:     by_value
      - .offset:         112
        .size:           4
        .value_kind:     by_value
      - .offset:         116
        .size:           4
        .value_kind:     by_value
      - .offset:         120
        .size:           4
        .value_kind:     by_value
      - .offset:         124
        .size:           4
        .value_kind:     by_value
      - .offset:         128
        .size:           4
        .value_kind:     by_value
      - .offset:         132
        .size:           4
        .value_kind:     by_value
      - .offset:         136
        .size:           4
        .value_kind:     by_value
      - .offset:         140
        .size:           4
        .value_kind:     by_value
      - .offset:         144
        .size:           4
        .value_kind:     by_value
      - .offset:         152
        .size:           8
        .value_kind:     by_value
      - .offset:         160
        .size:           4
        .value_kind:     by_value
      - .offset:         164
        .size:           4
        .value_kind:     by_value
      - .offset:         168
        .size:           8
        .value_kind:     by_value
      - .offset:         176
        .size:           4
        .value_kind:     by_value
      - .offset:         180
        .size:           4
        .value_kind:     by_value
      - .offset:         184
        .size:           4
        .value_kind:     by_value
      - .offset:         188
        .size:           4
        .value_kind:     by_value
      - .offset:         192
        .size:           4
        .value_kind:     by_value
      - .offset:         200
        .size:           8
        .value_kind:     by_value
      - .offset:         208
        .size:           4
        .value_kind:     hidden_block_count_x
      - .offset:         212
        .size:           4
        .value_kind:     hidden_block_count_y
      - .offset:         216
        .size:           4
        .value_kind:     hidden_block_count_z
      - .offset:         220
        .size:           2
        .value_kind:     hidden_group_size_x
      - .offset:         222
        .size:           2
        .value_kind:     hidden_group_size_y
      - .offset:         224
        .size:           2
        .value_kind:     hidden_group_size_z
      - .offset:         226
        .size:           2
        .value_kind:     hidden_remainder_x
      - .offset:         228
        .size:           2
        .value_kind:     hidden_remainder_y
      - .offset:         230
        .size:           2
        .value_kind:     hidden_remainder_z
      - .offset:         248
        .size:           8
        .value_kind:     hidden_global_offset_x
      - .offset:         256
        .size:           8
        .value_kind:     hidden_global_offset_y
      - .offset:         264
        .size:           8
        .value_kind:     hidden_global_offset_z
      - .offset:         272
        .size:           2
        .value_kind:     hidden_grid_dims
    .group_segment_fixed_size: 1536
    .kernarg_segment_align: 8
    .kernarg_segment_size: 464
    .language:       OpenCL C
    .language_version:
      - 2
      - 0
    .max_flat_workgroup_size: 128
    .name:           _ZL18flash_attn_ext_vecILi128ELi2EL9ggml_type2ELS0_8ELb0EEvPKcS2_S2_S2_S2_PKiPfP15HIP_vector_typeIfLj2EEffffjfiS6_IjLj3EEiiiiiiiiiiiliiliiiiil
    .private_segment_fixed_size: 32
    .sgpr_count:     70
    .sgpr_spill_count: 0
    .symbol:         _ZL18flash_attn_ext_vecILi128ELi2EL9ggml_type2ELS0_8ELb0EEvPKcS2_S2_S2_S2_PKiPfP15HIP_vector_typeIfLj2EEffffjfiS6_IjLj3EEiiiiiiiiiiiliiliiiiil.kd
    .uniform_work_group_size: 1
    .uses_dynamic_stack: false
    .vgpr_count:     247
    .vgpr_spill_count: 0
    .wavefront_size: 64
  - .args:
      - .address_space:  global
        .offset:         0
        .size:           8
        .value_kind:     global_buffer
      - .address_space:  global
        .offset:         8
        .size:           8
        .value_kind:     global_buffer
      - .offset:         16
        .size:           4
        .value_kind:     by_value
      - .offset:         20
        .size:           4
        .value_kind:     by_value
      - .offset:         24
        .size:           4
        .value_kind:     by_value
      - .offset:         28
        .size:           4
        .value_kind:     by_value
      - .offset:         32
        .size:           4
        .value_kind:     by_value
      - .offset:         36
        .size:           4
        .value_kind:     by_value
      - .offset:         40
        .size:           12
        .value_kind:     by_value
      - .offset:         52
        .size:           12
        .value_kind:     by_value
      - .offset:         64
        .size:           12
        .value_kind:     by_value
    .group_segment_fixed_size: 0
    .kernarg_segment_align: 8
    .kernarg_segment_size: 76
    .language:       OpenCL C
    .language_version:
      - 2
      - 0
    .max_flat_workgroup_size: 128
    .name:           _ZL33flash_attn_stream_k_fixup_uniformILi128ELi2ELi1EEvPfPK15HIP_vector_typeIfLj2EEiiiiiiS1_IjLj3EES5_S5_
    .private_segment_fixed_size: 0
    .sgpr_count:     24
    .sgpr_spill_count: 0
    .symbol:         _ZL33flash_attn_stream_k_fixup_uniformILi128ELi2ELi1EEvPfPK15HIP_vector_typeIfLj2EEiiiiiiS1_IjLj3EES5_S5_.kd
    .uniform_work_group_size: 1
    .uses_dynamic_stack: false
    .vgpr_count:     17
    .vgpr_spill_count: 0
    .wavefront_size: 64
  - .args:
      - .address_space:  global
        .offset:         0
        .size:           8
        .value_kind:     global_buffer
      - .address_space:  global
        .offset:         8
        .size:           8
        .value_kind:     global_buffer
      - .offset:         16
        .size:           4
        .value_kind:     by_value
      - .offset:         20
        .size:           4
        .value_kind:     by_value
      - .offset:         24
        .size:           4
        .value_kind:     by_value
      - .offset:         28
        .size:           4
        .value_kind:     by_value
      - .offset:         32
        .size:           12
        .value_kind:     by_value
      - .offset:         44
        .size:           12
        .value_kind:     by_value
      - .offset:         56
        .size:           12
        .value_kind:     by_value
      - .offset:         68
        .size:           12
        .value_kind:     by_value
      - .offset:         80
        .size:           4
        .value_kind:     hidden_block_count_x
      - .offset:         84
        .size:           4
        .value_kind:     hidden_block_count_y
      - .offset:         88
        .size:           4
        .value_kind:     hidden_block_count_z
      - .offset:         92
        .size:           2
        .value_kind:     hidden_group_size_x
      - .offset:         94
        .size:           2
        .value_kind:     hidden_group_size_y
      - .offset:         96
        .size:           2
        .value_kind:     hidden_group_size_z
      - .offset:         98
        .size:           2
        .value_kind:     hidden_remainder_x
      - .offset:         100
        .size:           2
        .value_kind:     hidden_remainder_y
      - .offset:         102
        .size:           2
        .value_kind:     hidden_remainder_z
      - .offset:         120
        .size:           8
        .value_kind:     hidden_global_offset_x
      - .offset:         128
        .size:           8
        .value_kind:     hidden_global_offset_y
      - .offset:         136
        .size:           8
        .value_kind:     hidden_global_offset_z
      - .offset:         144
        .size:           2
        .value_kind:     hidden_grid_dims
    .group_segment_fixed_size: 0
    .kernarg_segment_align: 8
    .kernarg_segment_size: 336
    .language:       OpenCL C
    .language_version:
      - 2
      - 0
    .max_flat_workgroup_size: 128
    .name:           _ZL33flash_attn_stream_k_fixup_generalILi128ELi2ELi1EEvPfPK15HIP_vector_typeIfLj2EEiiiiS1_IjLj3EES5_S5_S5_
    .private_segment_fixed_size: 0
    .sgpr_count:     40
    .sgpr_spill_count: 0
    .symbol:         _ZL33flash_attn_stream_k_fixup_generalILi128ELi2ELi1EEvPfPK15HIP_vector_typeIfLj2EEiiiiS1_IjLj3EES5_S5_S5_.kd
    .uniform_work_group_size: 1
    .uses_dynamic_stack: false
    .vgpr_count:     18
    .vgpr_spill_count: 0
    .wavefront_size: 64
  - .args:
      - .address_space:  global
        .offset:         0
        .size:           8
        .value_kind:     global_buffer
      - .address_space:  global
        .offset:         8
        .size:           8
        .value_kind:     global_buffer
      - .address_space:  global
        .offset:         16
        .size:           8
        .value_kind:     global_buffer
      - .address_space:  global
        .offset:         24
        .size:           8
        .value_kind:     global_buffer
      - .address_space:  global
        .offset:         32
        .size:           8
        .value_kind:     global_buffer
      - .address_space:  global
        .offset:         40
        .size:           8
        .value_kind:     global_buffer
      - .address_space:  global
        .offset:         48
        .size:           8
        .value_kind:     global_buffer
      - .address_space:  global
        .offset:         56
        .size:           8
        .value_kind:     global_buffer
      - .offset:         64
        .size:           4
        .value_kind:     by_value
      - .offset:         68
        .size:           4
        .value_kind:     by_value
      - .offset:         72
        .size:           4
        .value_kind:     by_value
      - .offset:         76
        .size:           4
        .value_kind:     by_value
      - .offset:         80
        .size:           4
        .value_kind:     by_value
      - .offset:         84
        .size:           4
        .value_kind:     by_value
      - .offset:         88
        .size:           4
        .value_kind:     by_value
      - .offset:         92
        .size:           12
        .value_kind:     by_value
      - .offset:         104
        .size:           4
        .value_kind:     by_value
      - .offset:         108
        .size:           4
        .value_kind:     by_value
      - .offset:         112
        .size:           4
        .value_kind:     by_value
      - .offset:         116
        .size:           4
        .value_kind:     by_value
      - .offset:         120
        .size:           4
        .value_kind:     by_value
      - .offset:         124
        .size:           4
        .value_kind:     by_value
      - .offset:         128
        .size:           4
        .value_kind:     by_value
      - .offset:         132
        .size:           4
        .value_kind:     by_value
      - .offset:         136
        .size:           4
        .value_kind:     by_value
      - .offset:         140
        .size:           4
        .value_kind:     by_value
      - .offset:         144
        .size:           4
        .value_kind:     by_value
      - .offset:         152
        .size:           8
        .value_kind:     by_value
      - .offset:         160
        .size:           4
        .value_kind:     by_value
      - .offset:         164
        .size:           4
        .value_kind:     by_value
      - .offset:         168
        .size:           8
        .value_kind:     by_value
      - .offset:         176
        .size:           4
        .value_kind:     by_value
      - .offset:         180
        .size:           4
        .value_kind:     by_value
      - .offset:         184
        .size:           4
        .value_kind:     by_value
      - .offset:         188
        .size:           4
        .value_kind:     by_value
      - .offset:         192
        .size:           4
        .value_kind:     by_value
      - .offset:         200
        .size:           8
        .value_kind:     by_value
      - .offset:         208
        .size:           4
        .value_kind:     hidden_block_count_x
      - .offset:         212
        .size:           4
        .value_kind:     hidden_block_count_y
      - .offset:         216
        .size:           4
        .value_kind:     hidden_block_count_z
      - .offset:         220
        .size:           2
        .value_kind:     hidden_group_size_x
      - .offset:         222
        .size:           2
        .value_kind:     hidden_group_size_y
      - .offset:         224
        .size:           2
        .value_kind:     hidden_group_size_z
      - .offset:         226
        .size:           2
        .value_kind:     hidden_remainder_x
      - .offset:         228
        .size:           2
        .value_kind:     hidden_remainder_y
      - .offset:         230
        .size:           2
        .value_kind:     hidden_remainder_z
      - .offset:         248
        .size:           8
        .value_kind:     hidden_global_offset_x
      - .offset:         256
        .size:           8
        .value_kind:     hidden_global_offset_y
      - .offset:         264
        .size:           8
        .value_kind:     hidden_global_offset_z
      - .offset:         272
        .size:           2
        .value_kind:     hidden_grid_dims
    .group_segment_fixed_size: 1536
    .kernarg_segment_align: 8
    .kernarg_segment_size: 464
    .language:       OpenCL C
    .language_version:
      - 2
      - 0
    .max_flat_workgroup_size: 128
    .name:           _ZL18flash_attn_ext_vecILi128ELi2EL9ggml_type2ELS0_8ELb1EEvPKcS2_S2_S2_S2_PKiPfP15HIP_vector_typeIfLj2EEffffjfiS6_IjLj3EEiiiiiiiiiiiliiliiiiil
    .private_segment_fixed_size: 32
    .sgpr_count:     71
    .sgpr_spill_count: 0
    .symbol:         _ZL18flash_attn_ext_vecILi128ELi2EL9ggml_type2ELS0_8ELb1EEvPKcS2_S2_S2_S2_PKiPfP15HIP_vector_typeIfLj2EEffffjfiS6_IjLj3EEiiiiiiiiiiiliiliiiiil.kd
    .uniform_work_group_size: 1
    .uses_dynamic_stack: false
    .vgpr_count:     250
    .vgpr_spill_count: 0
    .wavefront_size: 64
  - .args:
      - .address_space:  global
        .offset:         0
        .size:           8
        .value_kind:     global_buffer
      - .address_space:  global
        .offset:         8
        .size:           8
        .value_kind:     global_buffer
      - .address_space:  global
        .offset:         16
        .size:           8
        .value_kind:     global_buffer
      - .address_space:  global
        .offset:         24
        .size:           8
        .value_kind:     global_buffer
      - .address_space:  global
        .offset:         32
        .size:           8
        .value_kind:     global_buffer
      - .address_space:  global
        .offset:         40
        .size:           8
        .value_kind:     global_buffer
      - .address_space:  global
        .offset:         48
        .size:           8
        .value_kind:     global_buffer
      - .address_space:  global
        .offset:         56
        .size:           8
        .value_kind:     global_buffer
      - .offset:         64
        .size:           4
        .value_kind:     by_value
      - .offset:         68
        .size:           4
        .value_kind:     by_value
      - .offset:         72
        .size:           4
        .value_kind:     by_value
      - .offset:         76
        .size:           4
        .value_kind:     by_value
      - .offset:         80
        .size:           4
        .value_kind:     by_value
      - .offset:         84
        .size:           4
        .value_kind:     by_value
      - .offset:         88
        .size:           4
        .value_kind:     by_value
      - .offset:         92
        .size:           12
        .value_kind:     by_value
      - .offset:         104
        .size:           4
        .value_kind:     by_value
      - .offset:         108
        .size:           4
        .value_kind:     by_value
      - .offset:         112
        .size:           4
        .value_kind:     by_value
      - .offset:         116
        .size:           4
        .value_kind:     by_value
      - .offset:         120
        .size:           4
        .value_kind:     by_value
      - .offset:         124
        .size:           4
        .value_kind:     by_value
      - .offset:         128
        .size:           4
        .value_kind:     by_value
      - .offset:         132
        .size:           4
        .value_kind:     by_value
      - .offset:         136
        .size:           4
        .value_kind:     by_value
      - .offset:         140
        .size:           4
        .value_kind:     by_value
      - .offset:         144
        .size:           4
        .value_kind:     by_value
      - .offset:         152
        .size:           8
        .value_kind:     by_value
      - .offset:         160
        .size:           4
        .value_kind:     by_value
      - .offset:         164
        .size:           4
        .value_kind:     by_value
      - .offset:         168
        .size:           8
        .value_kind:     by_value
      - .offset:         176
        .size:           4
        .value_kind:     by_value
      - .offset:         180
        .size:           4
        .value_kind:     by_value
      - .offset:         184
        .size:           4
        .value_kind:     by_value
      - .offset:         188
        .size:           4
        .value_kind:     by_value
      - .offset:         192
        .size:           4
        .value_kind:     by_value
      - .offset:         200
        .size:           8
        .value_kind:     by_value
      - .offset:         208
        .size:           4
        .value_kind:     hidden_block_count_x
      - .offset:         212
        .size:           4
        .value_kind:     hidden_block_count_y
      - .offset:         216
        .size:           4
        .value_kind:     hidden_block_count_z
      - .offset:         220
        .size:           2
        .value_kind:     hidden_group_size_x
      - .offset:         222
        .size:           2
        .value_kind:     hidden_group_size_y
      - .offset:         224
        .size:           2
        .value_kind:     hidden_group_size_z
      - .offset:         226
        .size:           2
        .value_kind:     hidden_remainder_x
      - .offset:         228
        .size:           2
        .value_kind:     hidden_remainder_y
      - .offset:         230
        .size:           2
        .value_kind:     hidden_remainder_z
      - .offset:         248
        .size:           8
        .value_kind:     hidden_global_offset_x
      - .offset:         256
        .size:           8
        .value_kind:     hidden_global_offset_y
      - .offset:         264
        .size:           8
        .value_kind:     hidden_global_offset_z
      - .offset:         272
        .size:           2
        .value_kind:     hidden_grid_dims
    .group_segment_fixed_size: 2304
    .kernarg_segment_align: 8
    .kernarg_segment_size: 464
    .language:       OpenCL C
    .language_version:
      - 2
      - 0
    .max_flat_workgroup_size: 128
    .name:           _ZL18flash_attn_ext_vecILi256ELi1EL9ggml_type2ELS0_8ELb0EEvPKcS2_S2_S2_S2_PKiPfP15HIP_vector_typeIfLj2EEffffjfiS6_IjLj3EEiiiiiiiiiiiliiliiiiil
    .private_segment_fixed_size: 0
    .sgpr_count:     51
    .sgpr_spill_count: 0
    .symbol:         _ZL18flash_attn_ext_vecILi256ELi1EL9ggml_type2ELS0_8ELb0EEvPKcS2_S2_S2_S2_PKiPfP15HIP_vector_typeIfLj2EEffffjfiS6_IjLj3EEiiiiiiiiiiiliiliiiiil.kd
    .uniform_work_group_size: 1
    .uses_dynamic_stack: false
    .vgpr_count:     169
    .vgpr_spill_count: 0
    .wavefront_size: 64
  - .args:
      - .address_space:  global
        .offset:         0
        .size:           8
        .value_kind:     global_buffer
      - .address_space:  global
        .offset:         8
        .size:           8
        .value_kind:     global_buffer
      - .offset:         16
        .size:           4
        .value_kind:     by_value
      - .offset:         20
        .size:           4
        .value_kind:     by_value
      - .offset:         24
        .size:           4
        .value_kind:     by_value
      - .offset:         28
        .size:           4
        .value_kind:     by_value
      - .offset:         32
        .size:           4
        .value_kind:     by_value
      - .offset:         36
        .size:           4
        .value_kind:     by_value
      - .offset:         40
        .size:           12
        .value_kind:     by_value
      - .offset:         52
        .size:           12
        .value_kind:     by_value
      - .offset:         64
        .size:           12
        .value_kind:     by_value
    .group_segment_fixed_size: 0
    .kernarg_segment_align: 8
    .kernarg_segment_size: 76
    .language:       OpenCL C
    .language_version:
      - 2
      - 0
    .max_flat_workgroup_size: 256
    .name:           _ZL33flash_attn_stream_k_fixup_uniformILi256ELi1ELi1EEvPfPK15HIP_vector_typeIfLj2EEiiiiiiS1_IjLj3EES5_S5_
    .private_segment_fixed_size: 0
    .sgpr_count:     24
    .sgpr_spill_count: 0
    .symbol:         _ZL33flash_attn_stream_k_fixup_uniformILi256ELi1ELi1EEvPfPK15HIP_vector_typeIfLj2EEiiiiiiS1_IjLj3EES5_S5_.kd
    .uniform_work_group_size: 1
    .uses_dynamic_stack: false
    .vgpr_count:     17
    .vgpr_spill_count: 0
    .wavefront_size: 64
  - .args:
      - .address_space:  global
        .offset:         0
        .size:           8
        .value_kind:     global_buffer
      - .address_space:  global
        .offset:         8
        .size:           8
        .value_kind:     global_buffer
      - .offset:         16
        .size:           4
        .value_kind:     by_value
      - .offset:         20
        .size:           4
        .value_kind:     by_value
      - .offset:         24
        .size:           4
        .value_kind:     by_value
      - .offset:         28
        .size:           4
        .value_kind:     by_value
      - .offset:         32
        .size:           12
        .value_kind:     by_value
      - .offset:         44
        .size:           12
        .value_kind:     by_value
      - .offset:         56
        .size:           12
        .value_kind:     by_value
      - .offset:         68
        .size:           12
        .value_kind:     by_value
      - .offset:         80
        .size:           4
        .value_kind:     hidden_block_count_x
      - .offset:         84
        .size:           4
        .value_kind:     hidden_block_count_y
      - .offset:         88
        .size:           4
        .value_kind:     hidden_block_count_z
      - .offset:         92
        .size:           2
        .value_kind:     hidden_group_size_x
      - .offset:         94
        .size:           2
        .value_kind:     hidden_group_size_y
      - .offset:         96
        .size:           2
        .value_kind:     hidden_group_size_z
      - .offset:         98
        .size:           2
        .value_kind:     hidden_remainder_x
      - .offset:         100
        .size:           2
        .value_kind:     hidden_remainder_y
      - .offset:         102
        .size:           2
        .value_kind:     hidden_remainder_z
      - .offset:         120
        .size:           8
        .value_kind:     hidden_global_offset_x
      - .offset:         128
        .size:           8
        .value_kind:     hidden_global_offset_y
      - .offset:         136
        .size:           8
        .value_kind:     hidden_global_offset_z
      - .offset:         144
        .size:           2
        .value_kind:     hidden_grid_dims
    .group_segment_fixed_size: 0
    .kernarg_segment_align: 8
    .kernarg_segment_size: 336
    .language:       OpenCL C
    .language_version:
      - 2
      - 0
    .max_flat_workgroup_size: 256
    .name:           _ZL33flash_attn_stream_k_fixup_generalILi256ELi1ELi1EEvPfPK15HIP_vector_typeIfLj2EEiiiiS1_IjLj3EES5_S5_S5_
    .private_segment_fixed_size: 0
    .sgpr_count:     40
    .sgpr_spill_count: 0
    .symbol:         _ZL33flash_attn_stream_k_fixup_generalILi256ELi1ELi1EEvPfPK15HIP_vector_typeIfLj2EEiiiiS1_IjLj3EES5_S5_S5_.kd
    .uniform_work_group_size: 1
    .uses_dynamic_stack: false
    .vgpr_count:     18
    .vgpr_spill_count: 0
    .wavefront_size: 64
  - .args:
      - .address_space:  global
        .offset:         0
        .size:           8
        .value_kind:     global_buffer
      - .address_space:  global
        .offset:         8
        .size:           8
        .value_kind:     global_buffer
      - .address_space:  global
        .offset:         16
        .size:           8
        .value_kind:     global_buffer
      - .offset:         24
        .size:           4
        .value_kind:     by_value
      - .offset:         32
        .size:           4
        .value_kind:     hidden_block_count_x
      - .offset:         36
        .size:           4
        .value_kind:     hidden_block_count_y
      - .offset:         40
        .size:           4
        .value_kind:     hidden_block_count_z
      - .offset:         44
        .size:           2
        .value_kind:     hidden_group_size_x
      - .offset:         46
        .size:           2
        .value_kind:     hidden_group_size_y
      - .offset:         48
        .size:           2
        .value_kind:     hidden_group_size_z
      - .offset:         50
        .size:           2
        .value_kind:     hidden_remainder_x
      - .offset:         52
        .size:           2
        .value_kind:     hidden_remainder_y
      - .offset:         54
        .size:           2
        .value_kind:     hidden_remainder_z
      - .offset:         72
        .size:           8
        .value_kind:     hidden_global_offset_x
      - .offset:         80
        .size:           8
        .value_kind:     hidden_global_offset_y
      - .offset:         88
        .size:           8
        .value_kind:     hidden_global_offset_z
      - .offset:         96
        .size:           2
        .value_kind:     hidden_grid_dims
      - .offset:         152
        .size:           4
        .value_kind:     hidden_dynamic_lds_size
    .group_segment_fixed_size: 0
    .kernarg_segment_align: 8
    .kernarg_segment_size: 288
    .language:       OpenCL C
    .language_version:
      - 2
      - 0
    .max_flat_workgroup_size: 256
    .name:           _ZL26flash_attn_combine_resultsILi256EEvPKfPK15HIP_vector_typeIfLj2EEPfi
    .private_segment_fixed_size: 0
    .sgpr_count:     20
    .sgpr_spill_count: 0
    .symbol:         _ZL26flash_attn_combine_resultsILi256EEvPKfPK15HIP_vector_typeIfLj2EEPfi.kd
    .uniform_work_group_size: 1
    .uses_dynamic_stack: false
    .vgpr_count:     17
    .vgpr_spill_count: 0
    .wavefront_size: 64
  - .args:
      - .address_space:  global
        .offset:         0
        .size:           8
        .value_kind:     global_buffer
      - .address_space:  global
        .offset:         8
        .size:           8
        .value_kind:     global_buffer
      - .address_space:  global
        .offset:         16
        .size:           8
        .value_kind:     global_buffer
      - .address_space:  global
        .offset:         24
        .size:           8
        .value_kind:     global_buffer
      - .address_space:  global
        .offset:         32
        .size:           8
        .value_kind:     global_buffer
      - .address_space:  global
        .offset:         40
        .size:           8
        .value_kind:     global_buffer
      - .address_space:  global
        .offset:         48
        .size:           8
        .value_kind:     global_buffer
      - .address_space:  global
        .offset:         56
        .size:           8
        .value_kind:     global_buffer
      - .offset:         64
        .size:           4
        .value_kind:     by_value
      - .offset:         68
        .size:           4
        .value_kind:     by_value
      - .offset:         72
        .size:           4
        .value_kind:     by_value
      - .offset:         76
        .size:           4
        .value_kind:     by_value
      - .offset:         80
        .size:           4
        .value_kind:     by_value
      - .offset:         84
        .size:           4
        .value_kind:     by_value
      - .offset:         88
        .size:           4
        .value_kind:     by_value
      - .offset:         92
        .size:           12
        .value_kind:     by_value
      - .offset:         104
        .size:           4
        .value_kind:     by_value
      - .offset:         108
        .size:           4
        .value_kind:     by_value
      - .offset:         112
        .size:           4
        .value_kind:     by_value
      - .offset:         116
        .size:           4
        .value_kind:     by_value
      - .offset:         120
        .size:           4
        .value_kind:     by_value
      - .offset:         124
        .size:           4
        .value_kind:     by_value
      - .offset:         128
        .size:           4
        .value_kind:     by_value
      - .offset:         132
        .size:           4
        .value_kind:     by_value
      - .offset:         136
        .size:           4
        .value_kind:     by_value
      - .offset:         140
        .size:           4
        .value_kind:     by_value
      - .offset:         144
        .size:           4
        .value_kind:     by_value
      - .offset:         152
        .size:           8
        .value_kind:     by_value
      - .offset:         160
        .size:           4
        .value_kind:     by_value
      - .offset:         164
        .size:           4
        .value_kind:     by_value
      - .offset:         168
        .size:           8
        .value_kind:     by_value
      - .offset:         176
        .size:           4
        .value_kind:     by_value
      - .offset:         180
        .size:           4
        .value_kind:     by_value
      - .offset:         184
        .size:           4
        .value_kind:     by_value
      - .offset:         188
        .size:           4
        .value_kind:     by_value
      - .offset:         192
        .size:           4
        .value_kind:     by_value
      - .offset:         200
        .size:           8
        .value_kind:     by_value
      - .offset:         208
        .size:           4
        .value_kind:     hidden_block_count_x
      - .offset:         212
        .size:           4
        .value_kind:     hidden_block_count_y
      - .offset:         216
        .size:           4
        .value_kind:     hidden_block_count_z
      - .offset:         220
        .size:           2
        .value_kind:     hidden_group_size_x
      - .offset:         222
        .size:           2
        .value_kind:     hidden_group_size_y
      - .offset:         224
        .size:           2
        .value_kind:     hidden_group_size_z
      - .offset:         226
        .size:           2
        .value_kind:     hidden_remainder_x
      - .offset:         228
        .size:           2
        .value_kind:     hidden_remainder_y
      - .offset:         230
        .size:           2
        .value_kind:     hidden_remainder_z
      - .offset:         248
        .size:           8
        .value_kind:     hidden_global_offset_x
      - .offset:         256
        .size:           8
        .value_kind:     hidden_global_offset_y
      - .offset:         264
        .size:           8
        .value_kind:     hidden_global_offset_z
      - .offset:         272
        .size:           2
        .value_kind:     hidden_grid_dims
    .group_segment_fixed_size: 2304
    .kernarg_segment_align: 8
    .kernarg_segment_size: 464
    .language:       OpenCL C
    .language_version:
      - 2
      - 0
    .max_flat_workgroup_size: 128
    .name:           _ZL18flash_attn_ext_vecILi256ELi1EL9ggml_type2ELS0_8ELb1EEvPKcS2_S2_S2_S2_PKiPfP15HIP_vector_typeIfLj2EEffffjfiS6_IjLj3EEiiiiiiiiiiiliiliiiiil
    .private_segment_fixed_size: 0
    .sgpr_count:     58
    .sgpr_spill_count: 0
    .symbol:         _ZL18flash_attn_ext_vecILi256ELi1EL9ggml_type2ELS0_8ELb1EEvPKcS2_S2_S2_S2_PKiPfP15HIP_vector_typeIfLj2EEffffjfiS6_IjLj3EEiiiiiiiiiiiliiliiiiil.kd
    .uniform_work_group_size: 1
    .uses_dynamic_stack: false
    .vgpr_count:     172
    .vgpr_spill_count: 0
    .wavefront_size: 64
  - .args:
      - .address_space:  global
        .offset:         0
        .size:           8
        .value_kind:     global_buffer
      - .address_space:  global
        .offset:         8
        .size:           8
        .value_kind:     global_buffer
      - .address_space:  global
        .offset:         16
        .size:           8
        .value_kind:     global_buffer
      - .address_space:  global
        .offset:         24
        .size:           8
        .value_kind:     global_buffer
      - .address_space:  global
        .offset:         32
        .size:           8
        .value_kind:     global_buffer
      - .address_space:  global
        .offset:         40
        .size:           8
        .value_kind:     global_buffer
      - .address_space:  global
        .offset:         48
        .size:           8
        .value_kind:     global_buffer
      - .address_space:  global
        .offset:         56
        .size:           8
        .value_kind:     global_buffer
      - .offset:         64
        .size:           4
        .value_kind:     by_value
      - .offset:         68
        .size:           4
        .value_kind:     by_value
      - .offset:         72
        .size:           4
        .value_kind:     by_value
      - .offset:         76
        .size:           4
        .value_kind:     by_value
      - .offset:         80
        .size:           4
        .value_kind:     by_value
      - .offset:         84
        .size:           4
        .value_kind:     by_value
      - .offset:         88
        .size:           4
        .value_kind:     by_value
      - .offset:         92
        .size:           12
        .value_kind:     by_value
      - .offset:         104
        .size:           4
        .value_kind:     by_value
      - .offset:         108
        .size:           4
        .value_kind:     by_value
      - .offset:         112
        .size:           4
        .value_kind:     by_value
      - .offset:         116
        .size:           4
        .value_kind:     by_value
      - .offset:         120
        .size:           4
        .value_kind:     by_value
      - .offset:         124
        .size:           4
        .value_kind:     by_value
      - .offset:         128
        .size:           4
        .value_kind:     by_value
      - .offset:         132
        .size:           4
        .value_kind:     by_value
      - .offset:         136
        .size:           4
        .value_kind:     by_value
      - .offset:         140
        .size:           4
        .value_kind:     by_value
      - .offset:         144
        .size:           4
        .value_kind:     by_value
      - .offset:         152
        .size:           8
        .value_kind:     by_value
      - .offset:         160
        .size:           4
        .value_kind:     by_value
      - .offset:         164
        .size:           4
        .value_kind:     by_value
      - .offset:         168
        .size:           8
        .value_kind:     by_value
      - .offset:         176
        .size:           4
        .value_kind:     by_value
      - .offset:         180
        .size:           4
        .value_kind:     by_value
      - .offset:         184
        .size:           4
        .value_kind:     by_value
      - .offset:         188
        .size:           4
        .value_kind:     by_value
      - .offset:         192
        .size:           4
        .value_kind:     by_value
      - .offset:         200
        .size:           8
        .value_kind:     by_value
      - .offset:         208
        .size:           4
        .value_kind:     hidden_block_count_x
      - .offset:         212
        .size:           4
        .value_kind:     hidden_block_count_y
      - .offset:         216
        .size:           4
        .value_kind:     hidden_block_count_z
      - .offset:         220
        .size:           2
        .value_kind:     hidden_group_size_x
      - .offset:         222
        .size:           2
        .value_kind:     hidden_group_size_y
      - .offset:         224
        .size:           2
        .value_kind:     hidden_group_size_z
      - .offset:         226
        .size:           2
        .value_kind:     hidden_remainder_x
      - .offset:         228
        .size:           2
        .value_kind:     hidden_remainder_y
      - .offset:         230
        .size:           2
        .value_kind:     hidden_remainder_z
      - .offset:         248
        .size:           8
        .value_kind:     hidden_global_offset_x
      - .offset:         256
        .size:           8
        .value_kind:     hidden_global_offset_y
      - .offset:         264
        .size:           8
        .value_kind:     hidden_global_offset_z
      - .offset:         272
        .size:           2
        .value_kind:     hidden_grid_dims
    .group_segment_fixed_size: 2560
    .kernarg_segment_align: 8
    .kernarg_segment_size: 464
    .language:       OpenCL C
    .language_version:
      - 2
      - 0
    .max_flat_workgroup_size: 128
    .name:           _ZL18flash_attn_ext_vecILi256ELi2EL9ggml_type2ELS0_8ELb0EEvPKcS2_S2_S2_S2_PKiPfP15HIP_vector_typeIfLj2EEffffjfiS6_IjLj3EEiiiiiiiiiiiliiliiiiil
    .private_segment_fixed_size: 48
    .sgpr_count:     59
    .sgpr_spill_count: 0
    .symbol:         _ZL18flash_attn_ext_vecILi256ELi2EL9ggml_type2ELS0_8ELb0EEvPKcS2_S2_S2_S2_PKiPfP15HIP_vector_typeIfLj2EEffffjfiS6_IjLj3EEiiiiiiiiiiiliiliiiiil.kd
    .uniform_work_group_size: 1
    .uses_dynamic_stack: false
    .vgpr_count:     212
    .vgpr_spill_count: 0
    .wavefront_size: 64
  - .args:
      - .address_space:  global
        .offset:         0
        .size:           8
        .value_kind:     global_buffer
      - .address_space:  global
        .offset:         8
        .size:           8
        .value_kind:     global_buffer
      - .offset:         16
        .size:           4
        .value_kind:     by_value
      - .offset:         20
        .size:           4
        .value_kind:     by_value
      - .offset:         24
        .size:           4
        .value_kind:     by_value
      - .offset:         28
        .size:           4
        .value_kind:     by_value
      - .offset:         32
        .size:           4
        .value_kind:     by_value
      - .offset:         36
        .size:           4
        .value_kind:     by_value
      - .offset:         40
        .size:           12
        .value_kind:     by_value
      - .offset:         52
        .size:           12
        .value_kind:     by_value
      - .offset:         64
        .size:           12
        .value_kind:     by_value
    .group_segment_fixed_size: 0
    .kernarg_segment_align: 8
    .kernarg_segment_size: 76
    .language:       OpenCL C
    .language_version:
      - 2
      - 0
    .max_flat_workgroup_size: 256
    .name:           _ZL33flash_attn_stream_k_fixup_uniformILi256ELi2ELi1EEvPfPK15HIP_vector_typeIfLj2EEiiiiiiS1_IjLj3EES5_S5_
    .private_segment_fixed_size: 0
    .sgpr_count:     24
    .sgpr_spill_count: 0
    .symbol:         _ZL33flash_attn_stream_k_fixup_uniformILi256ELi2ELi1EEvPfPK15HIP_vector_typeIfLj2EEiiiiiiS1_IjLj3EES5_S5_.kd
    .uniform_work_group_size: 1
    .uses_dynamic_stack: false
    .vgpr_count:     17
    .vgpr_spill_count: 0
    .wavefront_size: 64
  - .args:
      - .address_space:  global
        .offset:         0
        .size:           8
        .value_kind:     global_buffer
      - .address_space:  global
        .offset:         8
        .size:           8
        .value_kind:     global_buffer
      - .offset:         16
        .size:           4
        .value_kind:     by_value
      - .offset:         20
        .size:           4
        .value_kind:     by_value
      - .offset:         24
        .size:           4
        .value_kind:     by_value
      - .offset:         28
        .size:           4
        .value_kind:     by_value
      - .offset:         32
        .size:           12
        .value_kind:     by_value
      - .offset:         44
        .size:           12
        .value_kind:     by_value
      - .offset:         56
        .size:           12
        .value_kind:     by_value
      - .offset:         68
        .size:           12
        .value_kind:     by_value
      - .offset:         80
        .size:           4
        .value_kind:     hidden_block_count_x
      - .offset:         84
        .size:           4
        .value_kind:     hidden_block_count_y
      - .offset:         88
        .size:           4
        .value_kind:     hidden_block_count_z
      - .offset:         92
        .size:           2
        .value_kind:     hidden_group_size_x
      - .offset:         94
        .size:           2
        .value_kind:     hidden_group_size_y
      - .offset:         96
        .size:           2
        .value_kind:     hidden_group_size_z
      - .offset:         98
        .size:           2
        .value_kind:     hidden_remainder_x
      - .offset:         100
        .size:           2
        .value_kind:     hidden_remainder_y
      - .offset:         102
        .size:           2
        .value_kind:     hidden_remainder_z
      - .offset:         120
        .size:           8
        .value_kind:     hidden_global_offset_x
      - .offset:         128
        .size:           8
        .value_kind:     hidden_global_offset_y
      - .offset:         136
        .size:           8
        .value_kind:     hidden_global_offset_z
      - .offset:         144
        .size:           2
        .value_kind:     hidden_grid_dims
    .group_segment_fixed_size: 0
    .kernarg_segment_align: 8
    .kernarg_segment_size: 336
    .language:       OpenCL C
    .language_version:
      - 2
      - 0
    .max_flat_workgroup_size: 256
    .name:           _ZL33flash_attn_stream_k_fixup_generalILi256ELi2ELi1EEvPfPK15HIP_vector_typeIfLj2EEiiiiS1_IjLj3EES5_S5_S5_
    .private_segment_fixed_size: 0
    .sgpr_count:     40
    .sgpr_spill_count: 0
    .symbol:         _ZL33flash_attn_stream_k_fixup_generalILi256ELi2ELi1EEvPfPK15HIP_vector_typeIfLj2EEiiiiS1_IjLj3EES5_S5_S5_.kd
    .uniform_work_group_size: 1
    .uses_dynamic_stack: false
    .vgpr_count:     18
    .vgpr_spill_count: 0
    .wavefront_size: 64
  - .args:
      - .address_space:  global
        .offset:         0
        .size:           8
        .value_kind:     global_buffer
      - .address_space:  global
        .offset:         8
        .size:           8
        .value_kind:     global_buffer
      - .address_space:  global
        .offset:         16
        .size:           8
        .value_kind:     global_buffer
      - .address_space:  global
        .offset:         24
        .size:           8
        .value_kind:     global_buffer
      - .address_space:  global
        .offset:         32
        .size:           8
        .value_kind:     global_buffer
      - .address_space:  global
        .offset:         40
        .size:           8
        .value_kind:     global_buffer
      - .address_space:  global
        .offset:         48
        .size:           8
        .value_kind:     global_buffer
      - .address_space:  global
        .offset:         56
        .size:           8
        .value_kind:     global_buffer
      - .offset:         64
        .size:           4
        .value_kind:     by_value
      - .offset:         68
        .size:           4
        .value_kind:     by_value
      - .offset:         72
        .size:           4
        .value_kind:     by_value
      - .offset:         76
        .size:           4
        .value_kind:     by_value
      - .offset:         80
        .size:           4
        .value_kind:     by_value
      - .offset:         84
        .size:           4
        .value_kind:     by_value
      - .offset:         88
        .size:           4
        .value_kind:     by_value
      - .offset:         92
        .size:           12
        .value_kind:     by_value
      - .offset:         104
        .size:           4
        .value_kind:     by_value
      - .offset:         108
        .size:           4
        .value_kind:     by_value
      - .offset:         112
        .size:           4
        .value_kind:     by_value
      - .offset:         116
        .size:           4
        .value_kind:     by_value
      - .offset:         120
        .size:           4
        .value_kind:     by_value
      - .offset:         124
        .size:           4
        .value_kind:     by_value
      - .offset:         128
        .size:           4
        .value_kind:     by_value
      - .offset:         132
        .size:           4
        .value_kind:     by_value
      - .offset:         136
        .size:           4
        .value_kind:     by_value
      - .offset:         140
        .size:           4
        .value_kind:     by_value
      - .offset:         144
        .size:           4
        .value_kind:     by_value
      - .offset:         152
        .size:           8
        .value_kind:     by_value
      - .offset:         160
        .size:           4
        .value_kind:     by_value
      - .offset:         164
        .size:           4
        .value_kind:     by_value
      - .offset:         168
        .size:           8
        .value_kind:     by_value
      - .offset:         176
        .size:           4
        .value_kind:     by_value
      - .offset:         180
        .size:           4
        .value_kind:     by_value
      - .offset:         184
        .size:           4
        .value_kind:     by_value
      - .offset:         188
        .size:           4
        .value_kind:     by_value
      - .offset:         192
        .size:           4
        .value_kind:     by_value
      - .offset:         200
        .size:           8
        .value_kind:     by_value
      - .offset:         208
        .size:           4
        .value_kind:     hidden_block_count_x
      - .offset:         212
        .size:           4
        .value_kind:     hidden_block_count_y
      - .offset:         216
        .size:           4
        .value_kind:     hidden_block_count_z
      - .offset:         220
        .size:           2
        .value_kind:     hidden_group_size_x
      - .offset:         222
        .size:           2
        .value_kind:     hidden_group_size_y
      - .offset:         224
        .size:           2
        .value_kind:     hidden_group_size_z
      - .offset:         226
        .size:           2
        .value_kind:     hidden_remainder_x
      - .offset:         228
        .size:           2
        .value_kind:     hidden_remainder_y
      - .offset:         230
        .size:           2
        .value_kind:     hidden_remainder_z
      - .offset:         248
        .size:           8
        .value_kind:     hidden_global_offset_x
      - .offset:         256
        .size:           8
        .value_kind:     hidden_global_offset_y
      - .offset:         264
        .size:           8
        .value_kind:     hidden_global_offset_z
      - .offset:         272
        .size:           2
        .value_kind:     hidden_grid_dims
    .group_segment_fixed_size: 2560
    .kernarg_segment_align: 8
    .kernarg_segment_size: 464
    .language:       OpenCL C
    .language_version:
      - 2
      - 0
    .max_flat_workgroup_size: 128
    .name:           _ZL18flash_attn_ext_vecILi256ELi2EL9ggml_type2ELS0_8ELb1EEvPKcS2_S2_S2_S2_PKiPfP15HIP_vector_typeIfLj2EEffffjfiS6_IjLj3EEiiiiiiiiiiiliiliiiiil
    .private_segment_fixed_size: 48
    .sgpr_count:     64
    .sgpr_spill_count: 0
    .symbol:         _ZL18flash_attn_ext_vecILi256ELi2EL9ggml_type2ELS0_8ELb1EEvPKcS2_S2_S2_S2_PKiPfP15HIP_vector_typeIfLj2EEffffjfiS6_IjLj3EEiiiiiiiiiiiliiliiiiil.kd
    .uniform_work_group_size: 1
    .uses_dynamic_stack: false
    .vgpr_count:     215
    .vgpr_spill_count: 0
    .wavefront_size: 64
amdhsa.target:   amdgcn-amd-amdhsa--gfx906
amdhsa.version:
  - 1
  - 2
...

	.end_amdgpu_metadata
